;; amdgpu-corpus repo=ROCm/rocFFT kind=compiled arch=gfx906 opt=O3
	.text
	.amdgcn_target "amdgcn-amd-amdhsa--gfx906"
	.amdhsa_code_object_version 6
	.protected	bluestein_single_back_len136_dim1_dp_op_CI_CI ; -- Begin function bluestein_single_back_len136_dim1_dp_op_CI_CI
	.globl	bluestein_single_back_len136_dim1_dp_op_CI_CI
	.p2align	8
	.type	bluestein_single_back_len136_dim1_dp_op_CI_CI,@function
bluestein_single_back_len136_dim1_dp_op_CI_CI: ; @bluestein_single_back_len136_dim1_dp_op_CI_CI
; %bb.0:
	s_mov_b64 s[62:63], s[2:3]
	v_mul_u32_u24_e32 v1, 0xf10, v0
	s_mov_b64 s[60:61], s[0:1]
	s_load_dwordx4 s[0:3], s[4:5], 0x28
	v_lshrrev_b32_e32 v1, 16, v1
	s_add_u32 s60, s60, s7
	v_mad_u64_u32 v[132:133], s[6:7], s6, 7, v[1:2]
	v_mov_b32_e32 v133, 0
	s_addc_u32 s61, s61, 0
	s_waitcnt lgkmcnt(0)
	v_cmp_gt_u64_e32 vcc, s[0:1], v[132:133]
	s_and_saveexec_b64 s[0:1], vcc
	s_cbranch_execz .LBB0_15
; %bb.1:
	s_mov_b32 s0, 0x24924925
	v_mul_hi_u32 v2, v132, s0
	v_mul_lo_u16_e32 v1, 17, v1
	v_sub_u16_e32 v255, v0, v1
	s_load_dwordx2 s[6:7], s[4:5], 0x0
	s_load_dwordx2 s[12:13], s[4:5], 0x38
	v_sub_u32_e32 v3, v132, v2
	v_lshrrev_b32_e32 v3, 1, v3
	v_add_u32_e32 v2, v3, v2
	v_lshrrev_b32_e32 v2, 2, v2
	v_mul_lo_u32 v2, v2, 7
	v_cmp_gt_u16_e32 vcc, 8, v255
	v_lshlrev_b32_e32 v240, 4, v255
	v_sub_u32_e32 v0, v132, v2
	v_mul_u32_u24_e32 v235, 0x88, v0
	v_or_b32_e32 v0, v235, v255
	v_lshlrev_b32_e32 v0, 4, v0
	buffer_store_dword v0, off, s[60:63], 0 ; 4-byte Folded Spill
	v_or_b32_e32 v0, 8, v255
	buffer_store_dword v0, off, s[60:63], 0 offset:36 ; 4-byte Folded Spill
	v_or_b32_e32 v0, 16, v255
	buffer_store_dword v0, off, s[60:63], 0 offset:32 ; 4-byte Folded Spill
	;; [unrolled: 2-line block ×8, first 2 shown]
	s_and_saveexec_b64 s[14:15], vcc
	s_cbranch_execz .LBB0_3
; %bb.2:
	s_load_dwordx2 s[0:1], s[4:5], 0x18
	v_or_b32_e32 v9, 8, v255
	v_mov_b32_e32 v8, s3
	v_or_b32_e32 v12, 16, v255
	v_or_b32_e32 v20, 24, v255
	s_waitcnt lgkmcnt(0)
	s_load_dwordx4 s[8:11], s[0:1], 0x0
	v_or_b32_e32 v28, 32, v255
	v_or_b32_e32 v36, 40, v255
	;; [unrolled: 1-line block ×4, first 2 shown]
	s_waitcnt lgkmcnt(0)
	v_mad_u64_u32 v[0:1], s[0:1], s10, v132, 0
	v_mad_u64_u32 v[2:3], s[0:1], s8, v255, 0
	v_or_b32_e32 v62, 64, v255
	v_or_b32_e32 v70, 0x48, v255
	v_mad_u64_u32 v[4:5], s[0:1], s11, v132, v[1:2]
	v_or_b32_e32 v78, 0x50, v255
	v_or_b32_e32 v86, 0x58, v255
	v_mad_u64_u32 v[5:6], s[0:1], s9, v255, v[3:4]
	v_mad_u64_u32 v[6:7], s[0:1], s8, v9, 0
	v_mov_b32_e32 v1, v4
	v_lshlrev_b64 v[0:1], 4, v[0:1]
	v_mov_b32_e32 v3, v5
	v_add_co_u32_e64 v48, s[0:1], s2, v0
	v_mov_b32_e32 v0, v7
	v_addc_co_u32_e64 v49, s[0:1], v8, v1, s[0:1]
	v_mad_u64_u32 v[0:1], s[0:1], s9, v9, v[0:1]
	v_lshlrev_b64 v[2:3], 4, v[2:3]
	v_or_b32_e32 v94, 0x60, v255
	v_add_co_u32_e64 v8, s[0:1], v48, v2
	v_addc_co_u32_e64 v9, s[0:1], v49, v3, s[0:1]
	v_mov_b32_e32 v7, v0
	v_mad_u64_u32 v[16:17], s[0:1], s8, v12, 0
	v_lshlrev_b64 v[0:1], 4, v[6:7]
	v_or_b32_e32 v102, 0x68, v255
	v_add_co_u32_e64 v10, s[0:1], v48, v0
	v_addc_co_u32_e64 v11, s[0:1], v49, v1, s[0:1]
	global_load_dwordx4 v[4:7], v[8:9], off
	global_load_dwordx4 v[0:3], v[10:11], off
	v_mov_b32_e32 v8, v17
	v_mad_u64_u32 v[17:18], s[0:1], s9, v12, v[8:9]
	v_mad_u64_u32 v[18:19], s[0:1], s8, v20, 0
	v_lshlrev_b64 v[16:17], 4, v[16:17]
	global_load_dwordx4 v[12:15], v240, s[6:7]
	global_load_dwordx4 v[8:11], v240, s[6:7] offset:128
	v_mad_u64_u32 v[19:20], s[0:1], s9, v20, v[19:20]
	v_add_co_u32_e64 v24, s[0:1], v48, v16
	v_addc_co_u32_e64 v25, s[0:1], v49, v17, s[0:1]
	v_mad_u64_u32 v[32:33], s[0:1], s8, v28, 0
	v_lshlrev_b64 v[16:17], 4, v[18:19]
	v_or_b32_e32 v110, 0x70, v255
	v_add_co_u32_e64 v26, s[0:1], v48, v16
	v_addc_co_u32_e64 v27, s[0:1], v49, v17, s[0:1]
	global_load_dwordx4 v[20:23], v[24:25], off
	global_load_dwordx4 v[16:19], v[26:27], off
	v_mov_b32_e32 v24, v33
	v_mad_u64_u32 v[33:34], s[0:1], s9, v28, v[24:25]
	v_mad_u64_u32 v[34:35], s[0:1], s8, v36, 0
	v_lshlrev_b64 v[32:33], 4, v[32:33]
	global_load_dwordx4 v[28:31], v240, s[6:7] offset:256
	global_load_dwordx4 v[24:27], v240, s[6:7] offset:384
	v_mad_u64_u32 v[35:36], s[0:1], s9, v36, v[35:36]
	v_add_co_u32_e64 v40, s[0:1], v48, v32
	v_addc_co_u32_e64 v41, s[0:1], v49, v33, s[0:1]
	v_mad_u64_u32 v[50:51], s[0:1], s8, v44, 0
	v_lshlrev_b64 v[32:33], 4, v[34:35]
	v_or_b32_e32 v118, 0x78, v255
	v_add_co_u32_e64 v42, s[0:1], v48, v32
	v_addc_co_u32_e64 v43, s[0:1], v49, v33, s[0:1]
	global_load_dwordx4 v[36:39], v[40:41], off
	global_load_dwordx4 v[32:35], v[42:43], off
	v_mov_b32_e32 v40, v51
	v_mad_u64_u32 v[51:52], s[0:1], s9, v44, v[40:41]
	v_mad_u64_u32 v[52:53], s[0:1], s8, v54, 0
	global_load_dwordx4 v[44:47], v240, s[6:7] offset:512
	global_load_dwordx4 v[40:43], v240, s[6:7] offset:640
	v_lshlrev_b64 v[50:51], 4, v[50:51]
	v_mad_u64_u32 v[53:54], s[0:1], s9, v54, v[53:54]
	v_add_co_u32_e64 v58, s[0:1], v48, v50
	v_addc_co_u32_e64 v59, s[0:1], v49, v51, s[0:1]
	v_mad_u64_u32 v[66:67], s[0:1], s8, v62, 0
	v_lshlrev_b64 v[50:51], 4, v[52:53]
	v_or_b32_e32 v120, 0x80, v255
	v_add_co_u32_e64 v60, s[0:1], v48, v50
	v_addc_co_u32_e64 v61, s[0:1], v49, v51, s[0:1]
	global_load_dwordx4 v[50:53], v[58:59], off
	global_load_dwordx4 v[54:57], v[60:61], off
	v_mov_b32_e32 v58, v67
	v_mad_u64_u32 v[67:68], s[0:1], s9, v62, v[58:59]
	global_load_dwordx4 v[58:61], v240, s[6:7] offset:768
	global_load_dwordx4 v[62:65], v240, s[6:7] offset:896
	v_mad_u64_u32 v[68:69], s[0:1], s8, v70, 0
	v_lshlrev_b64 v[66:67], 4, v[66:67]
	v_mad_u64_u32 v[69:70], s[0:1], s9, v70, v[69:70]
	v_add_co_u32_e64 v74, s[0:1], v48, v66
	v_addc_co_u32_e64 v75, s[0:1], v49, v67, s[0:1]
	v_mad_u64_u32 v[82:83], s[0:1], s8, v78, 0
	v_lshlrev_b64 v[66:67], 4, v[68:69]
	v_add_co_u32_e64 v76, s[0:1], v48, v66
	v_addc_co_u32_e64 v77, s[0:1], v49, v67, s[0:1]
	global_load_dwordx4 v[66:69], v[74:75], off
	global_load_dwordx4 v[70:73], v[76:77], off
	v_mov_b32_e32 v74, v83
	v_mad_u64_u32 v[83:84], s[0:1], s9, v78, v[74:75]
	v_mad_u64_u32 v[84:85], s[0:1], s8, v86, 0
	v_lshlrev_b64 v[82:83], 4, v[82:83]
	global_load_dwordx4 v[74:77], v240, s[6:7] offset:1024
	global_load_dwordx4 v[78:81], v240, s[6:7] offset:1152
	v_mad_u64_u32 v[85:86], s[0:1], s9, v86, v[85:86]
	v_add_co_u32_e64 v90, s[0:1], v48, v82
	v_addc_co_u32_e64 v91, s[0:1], v49, v83, s[0:1]
	v_mad_u64_u32 v[98:99], s[0:1], s8, v94, 0
	v_lshlrev_b64 v[82:83], 4, v[84:85]
	v_add_co_u32_e64 v92, s[0:1], v48, v82
	v_addc_co_u32_e64 v93, s[0:1], v49, v83, s[0:1]
	global_load_dwordx4 v[82:85], v[90:91], off
	global_load_dwordx4 v[86:89], v[92:93], off
	v_mov_b32_e32 v90, v99
	v_mad_u64_u32 v[99:100], s[0:1], s9, v94, v[90:91]
	v_mad_u64_u32 v[100:101], s[0:1], s8, v102, 0
	v_lshlrev_b64 v[98:99], 4, v[98:99]
	global_load_dwordx4 v[90:93], v240, s[6:7] offset:1280
	global_load_dwordx4 v[94:97], v240, s[6:7] offset:1408
	v_mad_u64_u32 v[101:102], s[0:1], s9, v102, v[101:102]
	v_add_co_u32_e64 v106, s[0:1], v48, v98
	v_addc_co_u32_e64 v107, s[0:1], v49, v99, s[0:1]
	v_mad_u64_u32 v[114:115], s[0:1], s8, v110, 0
	v_lshlrev_b64 v[98:99], 4, v[100:101]
	s_waitcnt vmcnt(17)
	v_mul_f64 v[141:142], v[22:23], v[30:31]
	v_add_co_u32_e64 v108, s[0:1], v48, v98
	v_addc_co_u32_e64 v109, s[0:1], v49, v99, s[0:1]
	global_load_dwordx4 v[98:101], v[106:107], off
	global_load_dwordx4 v[102:105], v[108:109], off
	v_mov_b32_e32 v106, v115
	v_mad_u64_u32 v[115:116], s[0:1], s9, v110, v[106:107]
	v_mad_u64_u32 v[116:117], s[0:1], s8, v118, 0
	v_lshlrev_b64 v[114:115], 4, v[114:115]
	global_load_dwordx4 v[106:109], v240, s[6:7] offset:1536
	global_load_dwordx4 v[110:113], v240, s[6:7] offset:1664
	v_mad_u64_u32 v[117:118], s[0:1], s9, v118, v[117:118]
	v_add_co_u32_e64 v114, s[0:1], v48, v114
	v_addc_co_u32_e64 v115, s[0:1], v49, v115, s[0:1]
	v_mad_u64_u32 v[130:131], s[0:1], s8, v120, 0
	v_lshlrev_b64 v[116:117], 4, v[116:117]
	v_mul_f64 v[30:31], v[20:21], v[30:31]
	v_add_co_u32_e64 v118, s[0:1], v48, v116
	v_mov_b32_e32 v116, v131
	v_addc_co_u32_e64 v119, s[0:1], v49, v117, s[0:1]
	v_mad_u64_u32 v[133:134], s[0:1], s9, v120, v[116:117]
	global_load_dwordx4 v[114:117], v[114:115], off
	s_nop 0
	global_load_dwordx4 v[118:121], v[118:119], off
	s_nop 0
	global_load_dwordx4 v[122:125], v240, s[6:7] offset:1792
	global_load_dwordx4 v[126:129], v240, s[6:7] offset:1920
	v_mov_b32_e32 v131, v133
	v_lshlrev_b64 v[130:131], 4, v[130:131]
	v_add_co_u32_e64 v48, s[0:1], v48, v130
	v_addc_co_u32_e64 v49, s[0:1], v49, v131, s[0:1]
	global_load_dwordx4 v[133:136], v[48:49], off
	global_load_dwordx4 v[137:140], v240, s[6:7] offset:2048
	v_mul_f64 v[48:49], v[6:7], v[14:15]
	v_mul_f64 v[14:15], v[4:5], v[14:15]
	;; [unrolled: 1-line block ×4, first 2 shown]
	v_fma_f64 v[4:5], v[4:5], v[12:13], v[48:49]
	v_fma_f64 v[6:7], v[6:7], v[12:13], -v[14:15]
	s_waitcnt vmcnt(26)
	v_mul_f64 v[12:13], v[18:19], v[26:27]
	v_fma_f64 v[0:1], v[0:1], v[8:9], v[130:131]
	v_fma_f64 v[2:3], v[2:3], v[8:9], -v[10:11]
	v_fma_f64 v[8:9], v[20:21], v[28:29], v[141:142]
	s_waitcnt vmcnt(23)
	v_mul_f64 v[20:21], v[38:39], v[46:47]
	v_mul_f64 v[14:15], v[16:17], v[26:27]
	v_fma_f64 v[10:11], v[22:23], v[28:29], -v[30:31]
	v_mul_f64 v[22:23], v[36:37], v[46:47]
	v_fma_f64 v[12:13], v[16:17], v[24:25], v[12:13]
	s_waitcnt vmcnt(22)
	v_mul_f64 v[26:27], v[34:35], v[42:43]
	v_mul_f64 v[28:29], v[32:33], v[42:43]
	s_waitcnt vmcnt(19)
	v_mul_f64 v[30:31], v[52:53], v[60:61]
	v_fma_f64 v[16:17], v[36:37], v[44:45], v[20:21]
	v_mul_f64 v[36:37], v[50:51], v[60:61]
	v_fma_f64 v[14:15], v[18:19], v[24:25], -v[14:15]
	v_fma_f64 v[18:19], v[38:39], v[44:45], -v[22:23]
	s_waitcnt vmcnt(18)
	v_mul_f64 v[38:39], v[56:57], v[64:65]
	v_fma_f64 v[20:21], v[32:33], v[40:41], v[26:27]
	v_mul_f64 v[42:43], v[54:55], v[64:65]
	v_fma_f64 v[22:23], v[34:35], v[40:41], -v[28:29]
	s_waitcnt vmcnt(15)
	v_mul_f64 v[32:33], v[68:69], v[76:77]
	v_fma_f64 v[26:27], v[52:53], v[58:59], -v[36:37]
	buffer_load_dword v36, off, s[60:63], 0 ; 4-byte Folded Reload
	v_mul_f64 v[34:35], v[66:67], v[76:77]
	v_fma_f64 v[24:25], v[50:51], v[58:59], v[30:31]
	v_fma_f64 v[28:29], v[54:55], v[62:63], v[38:39]
	v_fma_f64 v[30:31], v[56:57], v[62:63], -v[42:43]
	s_waitcnt vmcnt(0)
	ds_write_b128 v36, v[4:7]
	v_lshl_add_u32 v36, v235, 4, v240
	v_fma_f64 v[4:5], v[66:67], v[74:75], v[32:33]
	v_fma_f64 v[6:7], v[68:69], v[74:75], -v[34:35]
	ds_write_b128 v36, v[0:3] offset:128
	ds_write_b128 v36, v[8:11] offset:256
	;; [unrolled: 1-line block ×8, first 2 shown]
	v_mul_f64 v[0:1], v[72:73], v[80:81]
	v_mul_f64 v[2:3], v[70:71], v[80:81]
	;; [unrolled: 1-line block ×16, first 2 shown]
	v_fma_f64 v[0:1], v[70:71], v[78:79], v[0:1]
	v_fma_f64 v[2:3], v[72:73], v[78:79], -v[2:3]
	v_fma_f64 v[4:5], v[82:83], v[90:91], v[4:5]
	v_fma_f64 v[6:7], v[84:85], v[90:91], -v[6:7]
	;; [unrolled: 2-line block ×8, first 2 shown]
	ds_write_b128 v36, v[0:3] offset:1152
	ds_write_b128 v36, v[4:7] offset:1280
	;; [unrolled: 1-line block ×8, first 2 shown]
.LBB0_3:
	s_or_b64 exec, exec, s[14:15]
	s_load_dwordx2 s[0:1], s[4:5], 0x20
	s_load_dwordx2 s[8:9], s[4:5], 0x8
	v_lshlrev_b32_e32 v0, 4, v235
	s_waitcnt vmcnt(0) lgkmcnt(0)
	s_barrier
	buffer_store_dword v0, off, s[60:63], 0 offset:4 ; 4-byte Folded Spill
                                        ; implicit-def: $vgpr94_vgpr95
                                        ; implicit-def: $vgpr86_vgpr87
                                        ; implicit-def: $vgpr38_vgpr39
                                        ; implicit-def: $vgpr40_vgpr41
                                        ; implicit-def: $vgpr44_vgpr45
                                        ; implicit-def: $vgpr48_vgpr49
                                        ; implicit-def: $vgpr52_vgpr53
                                        ; implicit-def: $vgpr56_vgpr57
                                        ; implicit-def: $vgpr60_vgpr61
                                        ; implicit-def: $vgpr64_vgpr65
                                        ; implicit-def: $vgpr72_vgpr73
                                        ; implicit-def: $vgpr76_vgpr77
                                        ; implicit-def: $vgpr80_vgpr81
                                        ; implicit-def: $vgpr68_vgpr69
                                        ; implicit-def: $vgpr100_vgpr101
                                        ; implicit-def: $vgpr96_vgpr97
                                        ; implicit-def: $vgpr88_vgpr89
	s_and_saveexec_b64 s[2:3], vcc
	s_cbranch_execz .LBB0_5
; %bb.4:
	buffer_load_dword v0, off, s[60:63], 0  ; 4-byte Folded Reload
	s_waitcnt vmcnt(0)
	ds_read_b128 v[36:39], v0
	v_lshlrev_b32_e32 v0, 4, v235
	v_lshl_add_u32 v0, v255, 4, v0
	ds_read_b128 v[88:91], v0 offset:128
	ds_read_b128 v[84:87], v0 offset:256
	;; [unrolled: 1-line block ×16, first 2 shown]
.LBB0_5:
	s_or_b64 exec, exec, s[2:3]
	s_waitcnt lgkmcnt(0)
	v_add_f64 v[2:3], v[90:91], -v[82:83]
	s_mov_b32 s36, 0x5d8e7cdc
	s_mov_b32 s37, 0xbfd71e95
	v_add_f64 v[0:1], v[88:89], -v[80:81]
	v_add_f64 v[106:107], v[86:87], -v[78:79]
	s_mov_b32 s46, 0x2a9d6da3
	s_mov_b32 s38, 0x7c9e640b
	;; [unrolled: 1-line block ×3, first 2 shown]
	v_mul_f64 v[4:5], v[2:3], s[36:37]
	s_mov_b32 s24, 0x923c349f
	s_mov_b32 s26, 0x6c9a05f6
	;; [unrolled: 1-line block ×9, first 2 shown]
	v_mul_f64 v[6:7], v[0:1], s[36:37]
	buffer_store_dword v4, off, s[60:63], 0 offset:40 ; 4-byte Folded Spill
	s_nop 0
	buffer_store_dword v5, off, s[60:63], 0 offset:44 ; 4-byte Folded Spill
	v_mul_f64 v[8:9], v[2:3], s[46:47]
	v_mul_f64 v[10:11], v[0:1], s[46:47]
	;; [unrolled: 1-line block ×12, first 2 shown]
	v_add_f64 v[104:105], v[84:85], -v[76:77]
	v_mul_f64 v[108:109], v[106:107], s[46:47]
	buffer_store_dword v6, off, s[60:63], 0 offset:56 ; 4-byte Folded Spill
	s_nop 0
	buffer_store_dword v7, off, s[60:63], 0 offset:60 ; 4-byte Folded Spill
	buffer_store_dword v8, off, s[60:63], 0 offset:72 ; 4-byte Folded Spill
	s_nop 0
	buffer_store_dword v9, off, s[60:63], 0 offset:76 ; 4-byte Folded Spill
	;; [unrolled: 3-line block ×13, first 2 shown]
	v_mul_f64 v[114:115], v[104:105], s[46:47]
	buffer_store_dword v108, off, s[60:63], 0 offset:128 ; 4-byte Folded Spill
	s_nop 0
	buffer_store_dword v109, off, s[60:63], 0 offset:132 ; 4-byte Folded Spill
	buffer_store_dword v114, off, s[60:63], 0 offset:136 ; 4-byte Folded Spill
	s_nop 0
	buffer_store_dword v115, off, s[60:63], 0 offset:140 ; 4-byte Folded Spill
	v_add_f64 v[110:111], v[80:81], v[88:89]
	s_mov_b32 s2, 0x370991
	s_mov_b32 s3, 0x3fedd6d0
	v_add_f64 v[112:113], v[82:83], v[90:91]
	v_add_f64 v[120:121], v[84:85], v[76:77]
	s_mov_b32 s20, 0x75d4884
	s_mov_b32 s21, 0x3fe7a5f6
	v_add_f64 v[122:123], v[86:87], v[78:79]
	s_mov_b32 s10, 0x3259b75e
	s_mov_b32 s11, 0x3fb79ee6
	;; [unrolled: 1-line block ×20, first 2 shown]
	v_mul_f64 v[2:3], v[2:3], s[34:35]
	s_mov_b32 s45, 0x3fd71e95
	s_mov_b32 s44, s36
	v_mul_f64 v[0:1], v[0:1], s[34:35]
	v_add_f64 v[153:154], v[72:73], v[96:97]
	v_add_f64 v[155:156], v[74:75], v[98:99]
	s_mov_b32 s43, 0x3fc7851a
	s_mov_b32 s42, s34
	v_fma_f64 v[32:33], v[110:111], s[18:19], -v[2:3]
	v_fma_f64 v[2:3], v[110:111], s[18:19], v[2:3]
	v_add_f64 v[183:184], v[64:65], v[100:101]
	v_fma_f64 v[34:35], v[112:113], s[18:19], v[0:1]
	v_fma_f64 v[0:1], v[112:113], s[18:19], -v[0:1]
	v_add_f64 v[185:186], v[66:67], v[102:103]
	v_fma_f64 v[4:5], v[110:111], s[2:3], v[4:5]
	s_mov_b32 s53, 0x3fe9895b
	v_add_f64 v[32:33], v[36:37], v[32:33]
	v_add_f64 v[2:3], v[36:37], v[2:3]
	s_mov_b32 s52, s26
	v_add_f64 v[34:35], v[38:39], v[34:35]
	v_add_f64 v[0:1], v[38:39], v[0:1]
	v_add_f64 v[116:117], v[94:95], -v[62:63]
	v_add_f64 v[4:5], v[36:37], v[4:5]
	v_add_f64 v[215:216], v[92:93], v[60:61]
	;; [unrolled: 1-line block ×3, first 2 shown]
	v_add_f64 v[135:136], v[70:71], -v[58:59]
	v_add_f64 v[241:242], v[56:57], v[68:69]
	v_add_f64 v[133:134], v[68:69], -v[56:57]
	v_add_f64 v[243:244], v[58:59], v[70:71]
	v_fma_f64 v[6:7], v[112:113], s[2:3], -v[6:7]
	v_fma_f64 v[8:9], v[110:111], s[20:21], v[8:9]
	v_fma_f64 v[10:11], v[112:113], s[20:21], -v[10:11]
	v_fma_f64 v[12:13], v[110:111], s[4:5], v[12:13]
	;; [unrolled: 2-line block ×4, first 2 shown]
	v_add_f64 v[6:7], v[38:39], v[6:7]
	v_add_f64 v[8:9], v[36:37], v[8:9]
	;; [unrolled: 1-line block ×6, first 2 shown]
	v_fma_f64 v[108:109], v[120:121], s[20:21], v[108:109]
	v_add_f64 v[18:19], v[38:39], v[18:19]
	v_add_f64 v[20:21], v[36:37], v[20:21]
	v_fma_f64 v[22:23], v[112:113], s[16:17], -v[22:23]
	v_fma_f64 v[24:25], v[110:111], s[22:23], v[24:25]
	v_fma_f64 v[26:27], v[112:113], s[22:23], -v[26:27]
	v_fma_f64 v[28:29], v[110:111], s[14:15], v[28:29]
	v_fma_f64 v[30:31], v[112:113], s[14:15], -v[30:31]
	v_add_f64 v[4:5], v[108:109], v[4:5]
	v_fma_f64 v[108:109], v[122:123], s[20:21], -v[114:115]
	v_mul_f64 v[114:115], v[104:105], s[40:41]
	v_add_f64 v[22:23], v[38:39], v[22:23]
	v_add_f64 v[24:25], v[36:37], v[24:25]
	;; [unrolled: 1-line block ×5, first 2 shown]
	v_mul_f64 v[137:138], v[116:117], s[36:37]
	v_add_f64 v[6:7], v[108:109], v[6:7]
	v_mul_f64 v[108:109], v[106:107], s[40:41]
	buffer_store_dword v108, off, s[60:63], 0 offset:152 ; 4-byte Folded Spill
	s_nop 0
	buffer_store_dword v109, off, s[60:63], 0 offset:156 ; 4-byte Folded Spill
	buffer_store_dword v114, off, s[60:63], 0 offset:192 ; 4-byte Folded Spill
	s_nop 0
	buffer_store_dword v115, off, s[60:63], 0 offset:196 ; 4-byte Folded Spill
	v_mul_f64 v[251:252], v[135:136], s[26:27]
	v_mul_f64 v[253:254], v[133:134], s[26:27]
	;; [unrolled: 1-line block ×9, first 2 shown]
	v_add_f64 v[167:168], v[42:43], -v[54:55]
	v_add_f64 v[165:166], v[40:41], -v[52:53]
	;; [unrolled: 1-line block ×4, first 2 shown]
	v_mul_f64 v[181:182], v[167:168], s[52:53]
	v_mul_f64 v[143:144], v[165:166], s[30:31]
	;; [unrolled: 1-line block ×17, first 2 shown]
	v_fma_f64 v[108:109], v[120:121], s[10:11], v[108:109]
	v_add_f64 v[8:9], v[108:109], v[8:9]
	v_fma_f64 v[108:109], v[122:123], s[10:11], -v[114:115]
	v_mul_f64 v[114:115], v[104:105], s[26:27]
	v_add_f64 v[10:11], v[108:109], v[10:11]
	v_mul_f64 v[108:109], v[106:107], s[26:27]
	buffer_store_dword v108, off, s[60:63], 0 offset:200 ; 4-byte Folded Spill
	s_nop 0
	buffer_store_dword v109, off, s[60:63], 0 offset:204 ; 4-byte Folded Spill
	buffer_store_dword v114, off, s[60:63], 0 offset:208 ; 4-byte Folded Spill
	s_nop 0
	buffer_store_dword v115, off, s[60:63], 0 offset:212 ; 4-byte Folded Spill
	v_fma_f64 v[108:109], v[120:121], s[22:23], v[108:109]
	v_add_f64 v[12:13], v[108:109], v[12:13]
	v_fma_f64 v[108:109], v[122:123], s[22:23], -v[114:115]
	v_mul_f64 v[114:115], v[104:105], s[34:35]
	v_add_f64 v[14:15], v[108:109], v[14:15]
	v_mul_f64 v[108:109], v[106:107], s[34:35]
	buffer_store_dword v108, off, s[60:63], 0 offset:216 ; 4-byte Folded Spill
	s_nop 0
	buffer_store_dword v109, off, s[60:63], 0 offset:220 ; 4-byte Folded Spill
	buffer_store_dword v114, off, s[60:63], 0 offset:240 ; 4-byte Folded Spill
	s_nop 0
	buffer_store_dword v115, off, s[60:63], 0 offset:244 ; 4-byte Folded Spill
	;; [unrolled: 12-line block ×4, first 2 shown]
	v_fma_f64 v[108:109], v[120:121], s[16:17], v[108:109]
	v_add_f64 v[24:25], v[108:109], v[24:25]
	v_fma_f64 v[108:109], v[122:123], s[16:17], -v[114:115]
	v_mul_f64 v[114:115], v[104:105], s[28:29]
	v_mul_f64 v[104:105], v[104:105], s[44:45]
	v_add_f64 v[26:27], v[108:109], v[26:27]
	v_mul_f64 v[108:109], v[106:107], s[28:29]
	buffer_store_dword v108, off, s[60:63], 0 offset:304 ; 4-byte Folded Spill
	s_nop 0
	buffer_store_dword v109, off, s[60:63], 0 offset:308 ; 4-byte Folded Spill
	buffer_store_dword v114, off, s[60:63], 0 offset:312 ; 4-byte Folded Spill
	s_nop 0
	buffer_store_dword v115, off, s[60:63], 0 offset:316 ; 4-byte Folded Spill
	v_mul_f64 v[106:107], v[106:107], s[44:45]
	v_fma_f64 v[108:109], v[120:121], s[4:5], v[108:109]
	v_add_f64 v[28:29], v[108:109], v[28:29]
	v_fma_f64 v[108:109], v[122:123], s[4:5], -v[114:115]
	v_add_f64 v[30:31], v[108:109], v[30:31]
	v_fma_f64 v[108:109], v[120:121], s[2:3], -v[106:107]
	v_fma_f64 v[106:107], v[120:121], s[2:3], v[106:107]
	v_add_f64 v[32:33], v[108:109], v[32:33]
	v_fma_f64 v[108:109], v[122:123], s[2:3], v[104:105]
	v_add_f64 v[2:3], v[106:107], v[2:3]
	v_fma_f64 v[104:105], v[122:123], s[2:3], -v[104:105]
	v_add_f64 v[106:107], v[98:99], -v[74:75]
	v_add_f64 v[34:35], v[108:109], v[34:35]
	v_add_f64 v[0:1], v[104:105], v[0:1]
	v_add_f64 v[104:105], v[96:97], -v[72:73]
	v_mul_f64 v[108:109], v[106:107], s[38:39]
	buffer_store_dword v108, off, s[60:63], 0 offset:224 ; 4-byte Folded Spill
	s_nop 0
	buffer_store_dword v109, off, s[60:63], 0 offset:228 ; 4-byte Folded Spill
	v_mul_f64 v[114:115], v[104:105], s[38:39]
	buffer_store_dword v114, off, s[60:63], 0 offset:232 ; 4-byte Folded Spill
	s_nop 0
	buffer_store_dword v115, off, s[60:63], 0 offset:236 ; 4-byte Folded Spill
	v_fma_f64 v[108:109], v[153:154], s[4:5], v[108:109]
	v_add_f64 v[4:5], v[108:109], v[4:5]
	v_fma_f64 v[108:109], v[155:156], s[4:5], -v[114:115]
	v_mul_f64 v[114:115], v[104:105], s[26:27]
	v_add_f64 v[6:7], v[108:109], v[6:7]
	v_mul_f64 v[108:109], v[106:107], s[26:27]
	buffer_store_dword v108, off, s[60:63], 0 offset:248 ; 4-byte Folded Spill
	s_nop 0
	buffer_store_dword v109, off, s[60:63], 0 offset:252 ; 4-byte Folded Spill
	buffer_store_dword v114, off, s[60:63], 0 offset:280 ; 4-byte Folded Spill
	s_nop 0
	buffer_store_dword v115, off, s[60:63], 0 offset:284 ; 4-byte Folded Spill
	v_fma_f64 v[108:109], v[153:154], s[22:23], v[108:109]
	v_add_f64 v[8:9], v[108:109], v[8:9]
	v_fma_f64 v[108:109], v[155:156], s[22:23], -v[114:115]
	v_mul_f64 v[114:115], v[104:105], s[42:43]
	v_add_f64 v[10:11], v[108:109], v[10:11]
	v_mul_f64 v[108:109], v[106:107], s[42:43]
	buffer_store_dword v108, off, s[60:63], 0 offset:296 ; 4-byte Folded Spill
	s_nop 0
	buffer_store_dword v109, off, s[60:63], 0 offset:300 ; 4-byte Folded Spill
	buffer_store_dword v114, off, s[60:63], 0 offset:320 ; 4-byte Folded Spill
	s_nop 0
	buffer_store_dword v115, off, s[60:63], 0 offset:324 ; 4-byte Folded Spill
	s_mov_b32 s43, 0x3fe58eea
	s_mov_b32 s42, s46
	v_mul_f64 v[238:239], v[116:117], s[42:43]
	v_mul_f64 v[203:204], v[167:168], s[42:43]
	;; [unrolled: 1-line block ×4, first 2 shown]
	v_fma_f64 v[108:109], v[153:154], s[18:19], v[108:109]
	v_add_f64 v[12:13], v[108:109], v[12:13]
	v_fma_f64 v[108:109], v[155:156], s[18:19], -v[114:115]
	v_mul_f64 v[114:115], v[104:105], s[48:49]
	v_add_f64 v[14:15], v[108:109], v[14:15]
	v_mul_f64 v[108:109], v[106:107], s[48:49]
	buffer_store_dword v108, off, s[60:63], 0 offset:344 ; 4-byte Folded Spill
	s_nop 0
	buffer_store_dword v109, off, s[60:63], 0 offset:348 ; 4-byte Folded Spill
	buffer_store_dword v114, off, s[60:63], 0 offset:360 ; 4-byte Folded Spill
	s_nop 0
	buffer_store_dword v115, off, s[60:63], 0 offset:364 ; 4-byte Folded Spill
	v_fma_f64 v[108:109], v[153:154], s[16:17], v[108:109]
	v_add_f64 v[16:17], v[108:109], v[16:17]
	v_fma_f64 v[108:109], v[155:156], s[16:17], -v[114:115]
	v_mul_f64 v[114:115], v[104:105], s[42:43]
	v_add_f64 v[18:19], v[108:109], v[18:19]
	v_mul_f64 v[108:109], v[106:107], s[42:43]
	buffer_store_dword v108, off, s[60:63], 0 offset:368 ; 4-byte Folded Spill
	s_nop 0
	buffer_store_dword v109, off, s[60:63], 0 offset:372 ; 4-byte Folded Spill
	buffer_store_dword v114, off, s[60:63], 0 offset:376 ; 4-byte Folded Spill
	s_nop 0
	buffer_store_dword v115, off, s[60:63], 0 offset:380 ; 4-byte Folded Spill
	;; [unrolled: 12-line block ×3, first 2 shown]
	v_fma_f64 v[108:109], v[153:154], s[2:3], v[108:109]
	v_add_f64 v[24:25], v[108:109], v[24:25]
	v_fma_f64 v[108:109], v[155:156], s[2:3], -v[114:115]
	v_mul_f64 v[114:115], v[104:105], s[40:41]
	v_mul_f64 v[104:105], v[104:105], s[30:31]
	v_add_f64 v[26:27], v[108:109], v[26:27]
	v_mul_f64 v[108:109], v[106:107], s[40:41]
	buffer_store_dword v108, off, s[60:63], 0 offset:408 ; 4-byte Folded Spill
	s_nop 0
	buffer_store_dword v109, off, s[60:63], 0 offset:412 ; 4-byte Folded Spill
	buffer_store_dword v114, off, s[60:63], 0 offset:416 ; 4-byte Folded Spill
	s_nop 0
	buffer_store_dword v115, off, s[60:63], 0 offset:420 ; 4-byte Folded Spill
	v_mul_f64 v[106:107], v[106:107], s[30:31]
	v_fma_f64 v[108:109], v[153:154], s[10:11], v[108:109]
	v_add_f64 v[28:29], v[108:109], v[28:29]
	v_fma_f64 v[108:109], v[155:156], s[10:11], -v[114:115]
	v_add_f64 v[30:31], v[108:109], v[30:31]
	v_fma_f64 v[108:109], v[153:154], s[14:15], -v[106:107]
	v_fma_f64 v[106:107], v[153:154], s[14:15], v[106:107]
	v_add_f64 v[32:33], v[108:109], v[32:33]
	v_fma_f64 v[108:109], v[155:156], s[14:15], v[104:105]
	v_add_f64 v[2:3], v[106:107], v[2:3]
	v_fma_f64 v[104:105], v[155:156], s[14:15], -v[104:105]
	v_add_f64 v[106:107], v[102:103], -v[66:67]
	v_add_f64 v[34:35], v[108:109], v[34:35]
	v_add_f64 v[0:1], v[104:105], v[0:1]
	v_add_f64 v[104:105], v[100:101], -v[64:65]
	v_mul_f64 v[108:109], v[106:107], s[40:41]
	buffer_store_dword v108, off, s[60:63], 0 offset:328 ; 4-byte Folded Spill
	s_nop 0
	buffer_store_dword v109, off, s[60:63], 0 offset:332 ; 4-byte Folded Spill
	v_mul_f64 v[114:115], v[104:105], s[40:41]
	buffer_store_dword v114, off, s[60:63], 0 offset:336 ; 4-byte Folded Spill
	s_nop 0
	buffer_store_dword v115, off, s[60:63], 0 offset:340 ; 4-byte Folded Spill
	v_mul_f64 v[249:250], v[104:105], s[52:53]
	v_fma_f64 v[108:109], v[183:184], s[10:11], v[108:109]
	v_add_f64 v[4:5], v[108:109], v[4:5]
	v_fma_f64 v[108:109], v[185:186], s[10:11], -v[114:115]
	v_mul_f64 v[114:115], v[104:105], s[34:35]
	v_add_f64 v[6:7], v[108:109], v[6:7]
	v_mul_f64 v[108:109], v[106:107], s[34:35]
	buffer_store_dword v108, off, s[60:63], 0 offset:352 ; 4-byte Folded Spill
	s_nop 0
	buffer_store_dword v109, off, s[60:63], 0 offset:356 ; 4-byte Folded Spill
	buffer_store_dword v114, off, s[60:63], 0 offset:392 ; 4-byte Folded Spill
	s_nop 0
	buffer_store_dword v115, off, s[60:63], 0 offset:396 ; 4-byte Folded Spill
	v_fma_f64 v[108:109], v[183:184], s[18:19], v[108:109]
	v_add_f64 v[8:9], v[108:109], v[8:9]
	v_fma_f64 v[108:109], v[185:186], s[18:19], -v[114:115]
	v_mul_f64 v[114:115], v[104:105], s[48:49]
	v_add_f64 v[10:11], v[108:109], v[10:11]
	v_mul_f64 v[108:109], v[106:107], s[48:49]
	buffer_store_dword v108, off, s[60:63], 0 offset:424 ; 4-byte Folded Spill
	s_nop 0
	buffer_store_dword v109, off, s[60:63], 0 offset:428 ; 4-byte Folded Spill
	buffer_store_dword v114, off, s[60:63], 0 offset:448 ; 4-byte Folded Spill
	s_nop 0
	buffer_store_dword v115, off, s[60:63], 0 offset:452 ; 4-byte Folded Spill
	;; [unrolled: 12-line block ×4, first 2 shown]
	v_fma_f64 v[108:109], v[183:184], s[4:5], v[108:109]
	v_add_f64 v[20:21], v[108:109], v[20:21]
	v_fma_f64 v[108:109], v[185:186], s[4:5], -v[114:115]
	v_mul_f64 v[114:115], v[104:105], s[30:31]
	v_mul_f64 v[104:105], v[104:105], s[42:43]
	v_add_f64 v[22:23], v[108:109], v[22:23]
	v_mul_f64 v[108:109], v[106:107], s[30:31]
	buffer_store_dword v108, off, s[60:63], 0 offset:504 ; 4-byte Folded Spill
	s_nop 0
	buffer_store_dword v109, off, s[60:63], 0 offset:508 ; 4-byte Folded Spill
	buffer_store_dword v114, off, s[60:63], 0 offset:512 ; 4-byte Folded Spill
	s_nop 0
	buffer_store_dword v115, off, s[60:63], 0 offset:516 ; 4-byte Folded Spill
	v_fma_f64 v[108:109], v[183:184], s[14:15], v[108:109]
	v_add_f64 v[24:25], v[108:109], v[24:25]
	v_fma_f64 v[108:109], v[185:186], s[14:15], -v[114:115]
	v_add_f64 v[26:27], v[108:109], v[26:27]
	v_mul_f64 v[108:109], v[106:107], s[52:53]
	buffer_store_dword v108, off, s[60:63], 0 offset:520 ; 4-byte Folded Spill
	s_nop 0
	buffer_store_dword v109, off, s[60:63], 0 offset:524 ; 4-byte Folded Spill
	v_mul_f64 v[106:107], v[106:107], s[42:43]
	v_fma_f64 v[108:109], v[183:184], s[22:23], v[108:109]
	v_add_f64 v[28:29], v[108:109], v[28:29]
	v_fma_f64 v[108:109], v[185:186], s[22:23], -v[249:250]
	v_add_f64 v[30:31], v[108:109], v[30:31]
	v_fma_f64 v[108:109], v[183:184], s[20:21], -v[106:107]
	v_fma_f64 v[106:107], v[183:184], s[20:21], v[106:107]
	v_add_f64 v[32:33], v[108:109], v[32:33]
	v_fma_f64 v[108:109], v[185:186], s[20:21], v[104:105]
	v_fma_f64 v[104:105], v[185:186], s[20:21], -v[104:105]
	v_add_f64 v[2:3], v[106:107], v[2:3]
	v_add_f64 v[106:107], v[92:93], -v[60:61]
	v_add_f64 v[34:35], v[108:109], v[34:35]
	v_add_f64 v[0:1], v[104:105], v[0:1]
	v_mul_f64 v[104:105], v[116:117], s[24:25]
	v_mul_f64 v[108:109], v[106:107], s[24:25]
	buffer_store_dword v104, off, s[60:63], 0 offset:432 ; 4-byte Folded Spill
	s_nop 0
	buffer_store_dword v105, off, s[60:63], 0 offset:436 ; 4-byte Folded Spill
	buffer_store_dword v108, off, s[60:63], 0 offset:440 ; 4-byte Folded Spill
	s_nop 0
	buffer_store_dword v109, off, s[60:63], 0 offset:444 ; 4-byte Folded Spill
	v_mul_f64 v[114:115], v[106:107], s[38:39]
	v_mul_f64 v[126:127], v[106:107], s[34:35]
	;; [unrolled: 1-line block ×3, first 2 shown]
	v_fma_f64 v[104:105], v[215:216], s[16:17], v[104:105]
	v_add_f64 v[4:5], v[104:105], v[4:5]
	v_fma_f64 v[104:105], v[217:218], s[16:17], -v[108:109]
	v_mul_f64 v[108:109], v[106:107], s[50:51]
	v_add_f64 v[6:7], v[104:105], v[6:7]
	v_mul_f64 v[104:105], v[116:117], s[50:51]
	buffer_store_dword v104, off, s[60:63], 0 offset:456 ; 4-byte Folded Spill
	s_nop 0
	buffer_store_dword v105, off, s[60:63], 0 offset:460 ; 4-byte Folded Spill
	buffer_store_dword v108, off, s[60:63], 0 offset:488 ; 4-byte Folded Spill
	s_nop 0
	buffer_store_dword v109, off, s[60:63], 0 offset:492 ; 4-byte Folded Spill
	s_waitcnt vmcnt(0)
	s_barrier
	v_fma_f64 v[104:105], v[215:216], s[14:15], v[104:105]
	v_add_f64 v[8:9], v[104:105], v[8:9]
	v_fma_f64 v[104:105], v[217:218], s[14:15], -v[108:109]
	v_fma_f64 v[108:109], v[215:216], s[20:21], v[238:239]
	v_add_f64 v[10:11], v[104:105], v[10:11]
	v_mul_f64 v[104:105], v[106:107], s[42:43]
	v_add_f64 v[12:13], v[108:109], v[12:13]
	v_fma_f64 v[108:109], v[217:218], s[20:21], -v[104:105]
	v_add_f64 v[14:15], v[108:109], v[14:15]
	v_mul_f64 v[108:109], v[116:117], s[38:39]
	s_mov_b32 s39, 0x3fefdd0d
	s_mov_b32 s38, s40
	v_mul_f64 v[128:129], v[116:117], s[38:39]
	v_mul_f64 v[130:131], v[106:107], s[38:39]
	;; [unrolled: 1-line block ×5, first 2 shown]
	v_fma_f64 v[118:119], v[215:216], s[4:5], v[108:109]
	v_add_f64 v[16:17], v[118:119], v[16:17]
	v_fma_f64 v[118:119], v[217:218], s[4:5], -v[114:115]
	v_add_f64 v[18:19], v[118:119], v[18:19]
	v_mul_f64 v[118:119], v[116:117], s[34:35]
	v_mul_f64 v[116:117], v[116:117], s[26:27]
	v_fma_f64 v[124:125], v[215:216], s[18:19], v[118:119]
	v_add_f64 v[20:21], v[124:125], v[20:21]
	v_fma_f64 v[124:125], v[217:218], s[18:19], -v[126:127]
	v_add_f64 v[22:23], v[124:125], v[22:23]
	v_fma_f64 v[124:125], v[215:216], s[10:11], v[128:129]
	v_add_f64 v[24:25], v[124:125], v[24:25]
	v_fma_f64 v[124:125], v[217:218], s[10:11], -v[130:131]
	v_add_f64 v[26:27], v[124:125], v[26:27]
	;; [unrolled: 4-line block ×3, first 2 shown]
	v_fma_f64 v[124:125], v[215:216], s[22:23], -v[116:117]
	v_fma_f64 v[116:117], v[215:216], s[22:23], v[116:117]
	v_add_f64 v[32:33], v[124:125], v[32:33]
	v_fma_f64 v[124:125], v[217:218], s[22:23], v[106:107]
	v_fma_f64 v[106:107], v[217:218], s[22:23], -v[106:107]
	v_add_f64 v[2:3], v[116:117], v[2:3]
	v_add_f64 v[34:35], v[124:125], v[34:35]
	;; [unrolled: 1-line block ×3, first 2 shown]
	v_fma_f64 v[106:107], v[241:242], s[22:23], v[251:252]
	v_mul_f64 v[124:125], v[133:134], s[48:49]
	v_mul_f64 v[133:134], v[133:134], s[28:29]
	v_add_f64 v[4:5], v[106:107], v[4:5]
	v_fma_f64 v[106:107], v[243:244], s[22:23], -v[253:254]
	v_add_f64 v[6:7], v[106:107], v[6:7]
	v_mul_f64 v[106:107], v[135:136], s[48:49]
	v_fma_f64 v[116:117], v[241:242], s[16:17], v[106:107]
	v_add_f64 v[8:9], v[116:117], v[8:9]
	v_fma_f64 v[116:117], v[243:244], s[16:17], -v[124:125]
	v_add_f64 v[10:11], v[116:117], v[10:11]
	v_mul_f64 v[116:117], v[135:136], s[36:37]
	v_mul_f64 v[135:136], v[135:136], s[28:29]
	v_fma_f64 v[139:140], v[241:242], s[2:3], v[116:117]
	v_add_f64 v[12:13], v[139:140], v[12:13]
	v_fma_f64 v[139:140], v[243:244], s[2:3], -v[147:148]
	v_add_f64 v[14:15], v[139:140], v[14:15]
	v_fma_f64 v[139:140], v[241:242], s[14:15], v[157:158]
	v_add_f64 v[16:17], v[139:140], v[16:17]
	v_fma_f64 v[139:140], v[243:244], s[14:15], -v[159:160]
	v_add_f64 v[18:19], v[139:140], v[18:19]
	;; [unrolled: 4-line block ×5, first 2 shown]
	v_fma_f64 v[139:140], v[241:242], s[4:5], -v[135:136]
	v_fma_f64 v[135:136], v[241:242], s[4:5], v[135:136]
	v_add_f64 v[32:33], v[139:140], v[32:33]
	v_fma_f64 v[139:140], v[243:244], s[4:5], v[133:134]
	v_fma_f64 v[133:134], v[243:244], s[4:5], -v[133:134]
	v_add_f64 v[2:3], v[135:136], v[2:3]
	v_add_f64 v[135:136], v[42:43], v[54:55]
	;; [unrolled: 1-line block ×5, first 2 shown]
	v_mul_f64 v[139:140], v[167:168], s[30:31]
	v_fma_f64 v[145:146], v[133:134], s[14:15], v[139:140]
	v_add_f64 v[4:5], v[145:146], v[4:5]
	v_fma_f64 v[145:146], v[135:136], s[14:15], -v[143:144]
	v_add_f64 v[6:7], v[145:146], v[6:7]
	v_mul_f64 v[145:146], v[167:168], s[28:29]
	v_fma_f64 v[151:152], v[133:134], s[4:5], v[145:146]
	v_add_f64 v[8:9], v[151:152], v[8:9]
	v_fma_f64 v[151:152], v[135:136], s[4:5], -v[149:150]
	v_add_f64 v[10:11], v[151:152], v[10:11]
	v_mul_f64 v[151:152], v[167:168], s[40:41]
	v_mul_f64 v[167:168], v[167:168], s[24:25]
	v_fma_f64 v[177:178], v[133:134], s[10:11], v[151:152]
	v_add_f64 v[211:212], v[177:178], v[12:13]
	v_fma_f64 v[12:13], v[135:136], s[10:11], -v[173:174]
	v_mul_f64 v[177:178], v[225:226], s[34:35]
	v_add_f64 v[213:214], v[12:13], v[14:15]
	v_fma_f64 v[12:13], v[133:134], s[22:23], v[181:182]
	v_fma_f64 v[14:15], v[135:136], s[22:23], -v[189:190]
	v_add_f64 v[12:13], v[12:13], v[16:17]
	v_fma_f64 v[16:17], v[133:134], s[2:3], v[191:192]
	v_add_f64 v[14:15], v[14:15], v[18:19]
	v_fma_f64 v[18:19], v[135:136], s[2:3], -v[193:194]
	v_add_f64 v[16:17], v[16:17], v[20:21]
	v_fma_f64 v[20:21], v[133:134], s[18:19], v[197:198]
	v_add_f64 v[18:19], v[18:19], v[22:23]
	;; [unrolled: 4-line block ×3, first 2 shown]
	v_fma_f64 v[26:27], v[135:136], s[20:21], -v[205:206]
	v_add_f64 v[24:25], v[24:25], v[28:29]
	v_fma_f64 v[28:29], v[133:134], s[16:17], -v[167:168]
	v_add_f64 v[26:27], v[26:27], v[30:31]
	v_fma_f64 v[30:31], v[135:136], s[16:17], v[165:166]
	v_add_f64 v[28:29], v[28:29], v[32:33]
	v_fma_f64 v[32:33], v[133:134], s[16:17], v[167:168]
	v_add_f64 v[30:31], v[30:31], v[34:35]
	v_add_f64 v[167:168], v[46:47], v[50:51]
	;; [unrolled: 1-line block ×3, first 2 shown]
	v_fma_f64 v[2:3], v[135:136], s[16:17], -v[165:166]
	v_add_f64 v[165:166], v[44:45], v[48:49]
	v_add_f64 v[34:35], v[2:3], v[0:1]
	v_fma_f64 v[0:1], v[165:166], s[18:19], v[177:178]
	v_fma_f64 v[2:3], v[167:168], s[18:19], -v[179:180]
	v_add_f64 v[245:246], v[0:1], v[4:5]
	v_fma_f64 v[4:5], v[165:166], s[2:3], v[195:196]
	v_add_f64 v[247:248], v[2:3], v[6:7]
	v_fma_f64 v[6:7], v[167:168], s[2:3], -v[201:202]
	v_add_f64 v[1:2], v[4:5], v[8:9]
	v_fma_f64 v[8:9], v[165:166], s[14:15], v[207:208]
	v_add_f64 v[3:4], v[6:7], v[10:11]
	v_fma_f64 v[10:11], v[167:168], s[14:15], -v[209:210]
	v_add_f64 v[5:6], v[8:9], v[211:212]
	v_mul_f64 v[211:212], v[225:226], s[42:43]
	v_add_f64 v[7:8], v[10:11], v[213:214]
	v_mul_f64 v[213:214], v[219:220], s[42:43]
	v_mul_f64 v[219:220], v[219:220], s[38:39]
	v_fma_f64 v[221:222], v[165:166], s[20:21], v[211:212]
	v_add_f64 v[9:10], v[221:222], v[12:13]
	v_fma_f64 v[221:222], v[167:168], s[20:21], -v[213:214]
	v_add_f64 v[11:12], v[221:222], v[14:15]
	v_mul_f64 v[221:222], v[225:226], s[26:27]
	v_fma_f64 v[227:228], v[165:166], s[22:23], v[221:222]
	v_add_f64 v[13:14], v[227:228], v[16:17]
	v_fma_f64 v[227:228], v[167:168], s[22:23], -v[223:224]
	v_add_f64 v[15:16], v[227:228], v[18:19]
	;; [unrolled: 5-line block ×3, first 2 shown]
	v_mul_f64 v[231:232], v[225:226], s[24:25]
	v_mul_f64 v[225:226], v[225:226], s[38:39]
	v_fma_f64 v[236:237], v[165:166], s[16:17], v[231:232]
	v_add_f64 v[21:22], v[236:237], v[24:25]
	v_fma_f64 v[236:237], v[167:168], s[16:17], -v[233:234]
	v_add_f64 v[23:24], v[236:237], v[26:27]
	v_fma_f64 v[236:237], v[165:166], s[10:11], -v[225:226]
	v_fma_f64 v[225:226], v[165:166], s[10:11], v[225:226]
	v_add_f64 v[25:26], v[236:237], v[28:29]
	v_fma_f64 v[236:237], v[167:168], s[10:11], v[219:220]
	v_fma_f64 v[219:220], v[167:168], s[10:11], -v[219:220]
	v_add_f64 v[27:28], v[236:237], v[30:31]
	v_add_f64 v[29:30], v[225:226], v[32:33]
	;; [unrolled: 1-line block ×3, first 2 shown]
	v_mul_lo_u16_e32 v219, 17, v255
	s_and_saveexec_b64 s[24:25], vcc
	s_cbranch_execz .LBB0_7
; %bb.6:
	buffer_load_dword v33, off, s[60:63], 0 offset:416 ; 4-byte Folded Reload
	buffer_load_dword v34, off, s[60:63], 0 offset:420 ; 4-byte Folded Reload
	v_add_f64 v[90:91], v[38:39], v[90:91]
	v_add_f64 v[88:89], v[36:37], v[88:89]
	v_add_lshl_u32 v0, v235, v219, 4
	v_add_f64 v[86:87], v[86:87], v[90:91]
	v_add_f64 v[84:85], v[84:85], v[88:89]
	v_mul_f64 v[90:91], v[243:244], s[18:19]
	v_add_f64 v[86:87], v[98:99], v[86:87]
	v_mul_f64 v[98:99], v[155:156], s[10:11]
	;; [unrolled: 2-line block ×6, first 2 shown]
	v_add_f64 v[96:97], v[249:250], v[96:97]
	v_add_f64 v[88:89], v[94:95], v[86:87]
	v_mul_f64 v[94:95], v[217:218], s[2:3]
	v_mul_f64 v[86:87], v[135:136], s[20:21]
	v_add_f64 v[92:93], v[92:93], v[84:85]
	v_mul_f64 v[84:85], v[167:168], s[16:17]
	v_add_f64 v[70:71], v[70:71], v[88:89]
	v_add_f64 v[94:95], v[141:142], v[94:95]
	v_mul_f64 v[141:142], v[153:154], s[10:11]
	v_add_f64 v[86:87], v[205:206], v[86:87]
	v_add_f64 v[84:85], v[233:234], v[84:85]
	v_add_f64 v[68:69], v[68:69], v[92:93]
	v_mul_f64 v[205:206], v[243:244], s[16:17]
	v_add_f64 v[42:43], v[42:43], v[70:71]
	;; [unrolled: 4-line block ×3, first 2 shown]
	v_add_f64 v[40:41], v[44:45], v[40:41]
	v_add_f64 v[42:43], v[50:51], v[42:43]
	;; [unrolled: 1-line block ×5, first 2 shown]
	s_waitcnt vmcnt(0)
	v_add_f64 v[98:99], v[33:34], v[98:99]
	buffer_load_dword v33, off, s[60:63], 0 offset:312 ; 4-byte Folded Reload
	buffer_load_dword v34, off, s[60:63], 0 offset:316 ; 4-byte Folded Reload
	v_add_f64 v[42:43], v[58:59], v[42:43]
	v_add_f64 v[40:41], v[56:57], v[40:41]
	;; [unrolled: 1-line block ×10, first 2 shown]
	s_waitcnt vmcnt(0)
	v_add_f64 v[100:101], v[33:34], v[100:101]
	buffer_load_dword v33, off, s[60:63], 0 offset:184 ; 4-byte Folded Reload
	buffer_load_dword v34, off, s[60:63], 0 offset:188 ; 4-byte Folded Reload
	s_waitcnt vmcnt(0)
	v_add_f64 v[102:103], v[33:34], v[102:103]
	buffer_load_dword v33, off, s[60:63], 0 offset:408 ; 4-byte Folded Reload
	buffer_load_dword v34, off, s[60:63], 0 offset:412 ; 4-byte Folded Reload
	v_add_f64 v[102:103], v[38:39], v[102:103]
	v_add_f64 v[100:101], v[100:101], v[102:103]
	v_mul_f64 v[102:103], v[110:111], s[14:15]
	v_add_f64 v[98:99], v[98:99], v[100:101]
	v_mul_f64 v[100:101], v[120:121], s[4:5]
	;; [unrolled: 2-line block ×3, first 2 shown]
	v_add_f64 v[94:95], v[94:95], v[96:97]
	v_add_f64 v[98:99], v[98:99], -v[137:138]
	v_mul_f64 v[137:138], v[122:123], s[18:19]
	v_add_f64 v[90:91], v[90:91], v[94:95]
	v_add_f64 v[86:87], v[86:87], v[90:91]
	;; [unrolled: 1-line block ×3, first 2 shown]
	s_waitcnt vmcnt(0)
	v_add_f64 v[141:142], v[141:142], -v[33:34]
	buffer_load_dword v33, off, s[60:63], 0 offset:176 ; 4-byte Folded Reload
	buffer_load_dword v34, off, s[60:63], 0 offset:180 ; 4-byte Folded Reload
	s_waitcnt vmcnt(0)
	v_add_f64 v[102:103], v[102:103], -v[33:34]
	buffer_load_dword v33, off, s[60:63], 0 offset:304 ; 4-byte Folded Reload
	buffer_load_dword v34, off, s[60:63], 0 offset:308 ; 4-byte Folded Reload
	v_add_f64 v[102:103], v[36:37], v[102:103]
	s_waitcnt vmcnt(0)
	v_add_f64 v[100:101], v[100:101], -v[33:34]
	buffer_load_dword v33, off, s[60:63], 0 offset:520 ; 4-byte Folded Reload
	buffer_load_dword v34, off, s[60:63], 0 offset:524 ; 4-byte Folded Reload
	v_add_f64 v[100:101], v[100:101], v[102:103]
	v_mul_f64 v[102:103], v[183:184], s[22:23]
	v_add_f64 v[100:101], v[141:142], v[100:101]
	v_mul_f64 v[141:142], v[110:111], s[10:11]
	s_waitcnt vmcnt(0)
	v_add_f64 v[102:103], v[102:103], -v[33:34]
	buffer_load_dword v33, off, s[60:63], 0 offset:400 ; 4-byte Folded Reload
	buffer_load_dword v34, off, s[60:63], 0 offset:404 ; 4-byte Folded Reload
	v_add_f64 v[100:101], v[102:103], v[100:101]
	v_mul_f64 v[102:103], v[241:242], s[18:19]
	v_add_f64 v[96:97], v[98:99], v[100:101]
	v_add_f64 v[102:103], v[102:103], -v[175:176]
	v_mul_f64 v[98:99], v[133:134], s[20:21]
	v_mul_f64 v[100:101], v[120:121], s[16:17]
	;; [unrolled: 1-line block ×3, first 2 shown]
	v_add_f64 v[94:95], v[102:103], v[96:97]
	v_add_f64 v[98:99], v[98:99], -v[203:204]
	v_mul_f64 v[96:97], v[165:166], s[16:17]
	v_mul_f64 v[203:204], v[243:244], s[22:23]
	v_add_f64 v[90:91], v[98:99], v[94:95]
	v_add_f64 v[96:97], v[96:97], -v[231:232]
	v_mul_f64 v[94:95], v[112:113], s[22:23]
	v_mul_f64 v[98:99], v[110:111], s[22:23]
	v_add_f64 v[84:85], v[96:97], v[90:91]
	v_mul_f64 v[90:91], v[155:156], s[2:3]
	v_mul_f64 v[96:97], v[122:123], s[16:17]
	s_waitcnt vmcnt(0)
	v_add_f64 v[90:91], v[33:34], v[90:91]
	buffer_load_dword v33, off, s[60:63], 0 offset:168 ; 4-byte Folded Reload
	buffer_load_dword v34, off, s[60:63], 0 offset:172 ; 4-byte Folded Reload
	s_waitcnt vmcnt(0)
	v_add_f64 v[94:95], v[33:34], v[94:95]
	buffer_load_dword v33, off, s[60:63], 0 offset:288 ; 4-byte Folded Reload
	buffer_load_dword v34, off, s[60:63], 0 offset:292 ; 4-byte Folded Reload
	v_add_f64 v[94:95], v[38:39], v[94:95]
	s_waitcnt vmcnt(0)
	v_add_f64 v[96:97], v[33:34], v[96:97]
	buffer_load_dword v33, off, s[60:63], 0 offset:512 ; 4-byte Folded Reload
	buffer_load_dword v34, off, s[60:63], 0 offset:516 ; 4-byte Folded Reload
	v_add_f64 v[94:95], v[96:97], v[94:95]
	v_mul_f64 v[96:97], v[185:186], s[14:15]
	v_add_f64 v[90:91], v[90:91], v[94:95]
	v_mul_f64 v[94:95], v[217:218], s[10:11]
	;; [unrolled: 2-line block ×3, first 2 shown]
	s_waitcnt vmcnt(0)
	v_add_f64 v[96:97], v[33:34], v[96:97]
	buffer_load_dword v33, off, s[60:63], 0 offset:384 ; 4-byte Folded Reload
	buffer_load_dword v34, off, s[60:63], 0 offset:388 ; 4-byte Folded Reload
	v_add_f64 v[90:91], v[96:97], v[90:91]
	v_mul_f64 v[96:97], v[243:244], s[20:21]
	v_add_f64 v[90:91], v[94:95], v[90:91]
	v_add_f64 v[96:97], v[171:172], v[96:97]
	v_mul_f64 v[94:95], v[135:136], s[18:19]
	v_mul_f64 v[171:172], v[122:123], s[20:21]
	v_add_f64 v[90:91], v[96:97], v[90:91]
	v_add_f64 v[94:95], v[199:200], v[94:95]
	v_mul_f64 v[199:200], v[217:218], s[14:15]
	v_mul_f64 v[96:97], v[167:168], s[4:5]
	v_add_f64 v[90:91], v[94:95], v[90:91]
	v_mul_f64 v[94:95], v[153:154], s[2:3]
	v_add_f64 v[96:97], v[229:230], v[96:97]
	v_add_f64 v[90:91], v[96:97], v[90:91]
	s_waitcnt vmcnt(0)
	v_add_f64 v[94:95], v[94:95], -v[33:34]
	buffer_load_dword v33, off, s[60:63], 0 offset:160 ; 4-byte Folded Reload
	buffer_load_dword v34, off, s[60:63], 0 offset:164 ; 4-byte Folded Reload
	s_waitcnt vmcnt(0)
	v_add_f64 v[98:99], v[98:99], -v[33:34]
	buffer_load_dword v33, off, s[60:63], 0 offset:272 ; 4-byte Folded Reload
	buffer_load_dword v34, off, s[60:63], 0 offset:276 ; 4-byte Folded Reload
	v_add_f64 v[98:99], v[36:37], v[98:99]
	s_waitcnt vmcnt(0)
	v_add_f64 v[100:101], v[100:101], -v[33:34]
	buffer_load_dword v33, off, s[60:63], 0 offset:504 ; 4-byte Folded Reload
	buffer_load_dword v34, off, s[60:63], 0 offset:508 ; 4-byte Folded Reload
	v_add_f64 v[98:99], v[100:101], v[98:99]
	v_mul_f64 v[100:101], v[183:184], s[14:15]
	v_add_f64 v[94:95], v[94:95], v[98:99]
	v_mul_f64 v[98:99], v[215:216], s[10:11]
	v_add_f64 v[98:99], v[98:99], -v[128:129]
	v_mul_f64 v[128:129], v[122:123], s[14:15]
	s_waitcnt vmcnt(0)
	v_add_f64 v[100:101], v[100:101], -v[33:34]
	buffer_load_dword v33, off, s[60:63], 0 offset:376 ; 4-byte Folded Reload
	buffer_load_dword v34, off, s[60:63], 0 offset:380 ; 4-byte Folded Reload
	v_add_f64 v[94:95], v[100:101], v[94:95]
	v_mul_f64 v[100:101], v[241:242], s[20:21]
	v_add_f64 v[94:95], v[98:99], v[94:95]
	v_add_f64 v[100:101], v[100:101], -v[169:170]
	v_mul_f64 v[98:99], v[133:134], s[18:19]
	v_mul_f64 v[169:170], v[215:216], s[20:21]
	v_add_f64 v[94:95], v[100:101], v[94:95]
	v_add_f64 v[98:99], v[98:99], -v[197:198]
	v_mul_f64 v[197:198], v[215:216], s[14:15]
	v_add_f64 v[169:170], v[169:170], -v[238:239]
	v_mul_f64 v[100:101], v[165:166], s[4:5]
	v_add_f64 v[102:103], v[98:99], v[94:95]
	v_mul_f64 v[94:95], v[155:156], s[20:21]
	v_mul_f64 v[98:99], v[112:113], s[16:17]
	v_add_f64 v[100:101], v[100:101], -v[227:228]
	s_waitcnt vmcnt(0)
	v_add_f64 v[94:95], v[33:34], v[94:95]
	buffer_load_dword v33, off, s[60:63], 0 offset:144 ; 4-byte Folded Reload
	buffer_load_dword v34, off, s[60:63], 0 offset:148 ; 4-byte Folded Reload
	s_waitcnt vmcnt(0)
	v_add_f64 v[98:99], v[33:34], v[98:99]
	buffer_load_dword v33, off, s[60:63], 0 offset:264 ; 4-byte Folded Reload
	buffer_load_dword v34, off, s[60:63], 0 offset:268 ; 4-byte Folded Reload
	v_add_f64 v[98:99], v[38:39], v[98:99]
	s_waitcnt vmcnt(0)
	v_add_f64 v[128:129], v[33:34], v[128:129]
	buffer_load_dword v33, off, s[60:63], 0 offset:496 ; 4-byte Folded Reload
	buffer_load_dword v34, off, s[60:63], 0 offset:500 ; 4-byte Folded Reload
	v_add_f64 v[98:99], v[128:129], v[98:99]
	v_mul_f64 v[128:129], v[185:186], s[4:5]
	v_add_f64 v[94:95], v[94:95], v[98:99]
	v_mul_f64 v[98:99], v[217:218], s[18:19]
	;; [unrolled: 2-line block ×6, first 2 shown]
	s_waitcnt vmcnt(0)
	v_add_f64 v[128:129], v[33:34], v[128:129]
	buffer_load_dword v33, off, s[60:63], 0 offset:368 ; 4-byte Folded Reload
	buffer_load_dword v34, off, s[60:63], 0 offset:372 ; 4-byte Folded Reload
	v_add_f64 v[94:95], v[128:129], v[94:95]
	v_mul_f64 v[128:129], v[110:111], s[16:17]
	v_add_f64 v[94:95], v[98:99], v[94:95]
	v_mul_f64 v[98:99], v[135:136], s[2:3]
	v_add_f64 v[94:95], v[126:127], v[94:95]
	v_add_f64 v[98:99], v[193:194], v[98:99]
	v_mul_f64 v[193:194], v[217:218], s[16:17]
	v_mul_f64 v[126:127], v[167:168], s[22:23]
	v_add_f64 v[94:95], v[98:99], v[94:95]
	v_mul_f64 v[98:99], v[153:154], s[20:21]
	v_add_f64 v[126:127], v[223:224], v[126:127]
	v_add_f64 v[94:95], v[126:127], v[94:95]
	s_waitcnt vmcnt(0)
	v_add_f64 v[98:99], v[98:99], -v[33:34]
	buffer_load_dword v33, off, s[60:63], 0 offset:120 ; 4-byte Folded Reload
	buffer_load_dword v34, off, s[60:63], 0 offset:124 ; 4-byte Folded Reload
	s_waitcnt vmcnt(0)
	v_add_f64 v[128:129], v[128:129], -v[33:34]
	buffer_load_dword v33, off, s[60:63], 0 offset:256 ; 4-byte Folded Reload
	buffer_load_dword v34, off, s[60:63], 0 offset:260 ; 4-byte Folded Reload
	v_add_f64 v[128:129], v[36:37], v[128:129]
	s_waitcnt vmcnt(0)
	v_add_f64 v[130:131], v[130:131], -v[33:34]
	buffer_load_dword v33, off, s[60:63], 0 offset:480 ; 4-byte Folded Reload
	buffer_load_dword v34, off, s[60:63], 0 offset:484 ; 4-byte Folded Reload
	v_add_f64 v[128:129], v[130:131], v[128:129]
	v_mul_f64 v[130:131], v[183:184], s[4:5]
	v_add_f64 v[98:99], v[98:99], v[128:129]
	v_mul_f64 v[128:129], v[215:216], s[18:19]
	v_add_f64 v[118:119], v[128:129], -v[118:119]
	v_mul_f64 v[128:129], v[241:242], s[10:11]
	v_add_f64 v[128:129], v[128:129], -v[161:162]
	;; [unrolled: 2-line block ×3, first 2 shown]
	v_mul_f64 v[181:182], v[153:154], s[22:23]
	s_waitcnt vmcnt(0)
	v_add_f64 v[130:131], v[130:131], -v[33:34]
	buffer_load_dword v33, off, s[60:63], 0 offset:360 ; 4-byte Folded Reload
	buffer_load_dword v34, off, s[60:63], 0 offset:364 ; 4-byte Folded Reload
	v_add_f64 v[98:99], v[130:131], v[98:99]
	v_mul_f64 v[130:131], v[112:113], s[10:11]
	v_add_f64 v[98:99], v[118:119], v[98:99]
	v_mul_f64 v[118:119], v[133:134], s[2:3]
	v_add_f64 v[98:99], v[128:129], v[98:99]
	v_add_f64 v[118:119], v[118:119], -v[191:192]
	v_mul_f64 v[191:192], v[215:216], s[16:17]
	v_mul_f64 v[128:129], v[165:166], s[22:23]
	v_add_f64 v[118:119], v[118:119], v[98:99]
	v_mul_f64 v[98:99], v[155:156], s[16:17]
	v_add_f64 v[128:129], v[128:129], -v[221:222]
	s_waitcnt vmcnt(0)
	v_add_f64 v[98:99], v[33:34], v[98:99]
	buffer_load_dword v33, off, s[60:63], 0 offset:112 ; 4-byte Folded Reload
	buffer_load_dword v34, off, s[60:63], 0 offset:116 ; 4-byte Folded Reload
	s_waitcnt vmcnt(0)
	v_add_f64 v[130:131], v[33:34], v[130:131]
	buffer_load_dword v33, off, s[60:63], 0 offset:240 ; 4-byte Folded Reload
	buffer_load_dword v34, off, s[60:63], 0 offset:244 ; 4-byte Folded Reload
	v_add_f64 v[130:131], v[38:39], v[130:131]
	s_waitcnt vmcnt(0)
	v_add_f64 v[137:138], v[33:34], v[137:138]
	buffer_load_dword v33, off, s[60:63], 0 offset:472 ; 4-byte Folded Reload
	buffer_load_dword v34, off, s[60:63], 0 offset:476 ; 4-byte Folded Reload
	v_add_f64 v[130:131], v[137:138], v[130:131]
	v_mul_f64 v[137:138], v[185:186], s[2:3]
	v_add_f64 v[98:99], v[98:99], v[130:131]
	v_mul_f64 v[130:131], v[217:218], s[4:5]
	;; [unrolled: 2-line block ×4, first 2 shown]
	v_mul_f64 v[122:123], v[122:123], s[10:11]
	s_waitcnt vmcnt(0)
	v_add_f64 v[137:138], v[33:34], v[137:138]
	buffer_load_dword v33, off, s[60:63], 0 offset:344 ; 4-byte Folded Reload
	buffer_load_dword v34, off, s[60:63], 0 offset:348 ; 4-byte Folded Reload
	v_add_f64 v[98:99], v[137:138], v[98:99]
	v_mul_f64 v[137:138], v[153:154], s[16:17]
	v_mul_f64 v[153:154], v[153:154], s[18:19]
	v_add_f64 v[98:99], v[114:115], v[98:99]
	v_mul_f64 v[114:115], v[135:136], s[22:23]
	v_add_f64 v[98:99], v[130:131], v[98:99]
	v_add_f64 v[114:115], v[189:190], v[114:115]
	v_mul_f64 v[189:190], v[185:186], s[10:11]
	v_mul_f64 v[130:131], v[167:168], s[20:21]
	v_add_f64 v[98:99], v[114:115], v[98:99]
	v_mul_f64 v[114:115], v[241:242], s[14:15]
	v_add_f64 v[130:131], v[213:214], v[130:131]
	v_mul_f64 v[213:214], v[135:136], s[14:15]
	v_mul_f64 v[135:136], v[135:136], s[4:5]
	v_add_f64 v[114:115], v[114:115], -v[157:158]
	v_mul_f64 v[157:158], v[120:121], s[18:19]
	v_add_f64 v[98:99], v[130:131], v[98:99]
	s_waitcnt vmcnt(0)
	v_add_f64 v[137:138], v[137:138], -v[33:34]
	buffer_load_dword v33, off, s[60:63], 0 offset:104 ; 4-byte Folded Reload
	buffer_load_dword v34, off, s[60:63], 0 offset:108 ; 4-byte Folded Reload
	s_waitcnt vmcnt(0)
	v_add_f64 v[141:142], v[141:142], -v[33:34]
	buffer_load_dword v33, off, s[60:63], 0 offset:216 ; 4-byte Folded Reload
	buffer_load_dword v34, off, s[60:63], 0 offset:220 ; 4-byte Folded Reload
	v_add_f64 v[141:142], v[36:37], v[141:142]
	s_waitcnt vmcnt(0)
	v_add_f64 v[157:158], v[157:158], -v[33:34]
	buffer_load_dword v33, off, s[60:63], 0 offset:464 ; 4-byte Folded Reload
	buffer_load_dword v34, off, s[60:63], 0 offset:468 ; 4-byte Folded Reload
	v_add_f64 v[141:142], v[157:158], v[141:142]
	v_mul_f64 v[157:158], v[183:184], s[2:3]
	v_add_f64 v[137:138], v[137:138], v[141:142]
	v_mul_f64 v[141:142], v[215:216], s[4:5]
	v_mul_f64 v[215:216], v[167:168], s[18:19]
	v_mul_f64 v[167:168], v[167:168], s[14:15]
	v_add_f64 v[108:109], v[141:142], -v[108:109]
	v_mul_f64 v[141:142], v[155:156], s[18:19]
	v_mul_f64 v[155:156], v[155:156], s[22:23]
	v_add_f64 v[88:89], v[209:210], v[167:168]
	s_waitcnt vmcnt(0)
	v_add_f64 v[157:158], v[157:158], -v[33:34]
	buffer_load_dword v33, off, s[60:63], 0 offset:320 ; 4-byte Folded Reload
	buffer_load_dword v34, off, s[60:63], 0 offset:324 ; 4-byte Folded Reload
	v_add_f64 v[137:138], v[157:158], v[137:138]
	v_mul_f64 v[157:158], v[112:113], s[4:5]
	v_add_f64 v[108:109], v[108:109], v[137:138]
	v_mul_f64 v[137:138], v[110:111], s[2:3]
	;; [unrolled: 2-line block ×3, first 2 shown]
	v_mul_f64 v[110:111], v[110:111], s[4:5]
	v_add_f64 v[108:109], v[161:162], v[108:109]
	v_mul_f64 v[161:162], v[183:184], s[16:17]
	v_mul_f64 v[183:184], v[183:184], s[18:19]
	s_waitcnt vmcnt(0)
	v_add_f64 v[141:142], v[33:34], v[141:142]
	buffer_load_dword v33, off, s[60:63], 0 offset:96 ; 4-byte Folded Reload
	buffer_load_dword v34, off, s[60:63], 0 offset:100 ; 4-byte Folded Reload
	s_waitcnt vmcnt(0)
	v_add_f64 v[157:158], v[33:34], v[157:158]
	buffer_load_dword v33, off, s[60:63], 0 offset:208 ; 4-byte Folded Reload
	buffer_load_dword v34, off, s[60:63], 0 offset:212 ; 4-byte Folded Reload
	v_add_f64 v[157:158], v[38:39], v[157:158]
	s_waitcnt vmcnt(0)
	v_add_f64 v[159:160], v[33:34], v[159:160]
	buffer_load_dword v33, off, s[60:63], 0 offset:448 ; 4-byte Folded Reload
	buffer_load_dword v34, off, s[60:63], 0 offset:452 ; 4-byte Folded Reload
	v_add_f64 v[157:158], v[159:160], v[157:158]
	v_mul_f64 v[159:160], v[185:186], s[16:17]
	v_mul_f64 v[185:186], v[185:186], s[18:19]
	v_add_f64 v[141:142], v[141:142], v[157:158]
	v_mul_f64 v[157:158], v[217:218], s[20:21]
	v_add_f64 v[104:105], v[104:105], v[157:158]
	v_mul_f64 v[157:158], v[112:113], s[2:3]
	v_mul_f64 v[112:113], v[112:113], s[20:21]
	s_waitcnt vmcnt(0)
	v_add_f64 v[159:160], v[33:34], v[159:160]
	buffer_load_dword v33, off, s[60:63], 0 offset:424 ; 4-byte Folded Reload
	buffer_load_dword v34, off, s[60:63], 0 offset:428 ; 4-byte Folded Reload
	v_add_f64 v[141:142], v[159:160], v[141:142]
	v_mul_f64 v[159:160], v[165:166], s[20:21]
	v_add_f64 v[104:105], v[104:105], v[141:142]
	v_mul_f64 v[141:142], v[120:121], s[20:21]
	v_add_f64 v[159:160], v[159:160], -v[211:212]
	v_mul_f64 v[211:212], v[241:242], s[2:3]
	v_add_f64 v[104:105], v[147:148], v[104:105]
	v_mul_f64 v[147:148], v[120:121], s[10:11]
	v_mul_f64 v[120:121], v[120:121], s[22:23]
	v_add_f64 v[92:93], v[211:212], -v[116:117]
	v_add_f64 v[104:105], v[163:164], v[104:105]
	s_waitcnt vmcnt(0)
	v_add_f64 v[161:162], v[161:162], -v[33:34]
	buffer_load_dword v33, off, s[60:63], 0 offset:88 ; 4-byte Folded Reload
	buffer_load_dword v34, off, s[60:63], 0 offset:92 ; 4-byte Folded Reload
	s_waitcnt vmcnt(0)
	v_add_f64 v[110:111], v[110:111], -v[33:34]
	buffer_load_dword v33, off, s[60:63], 0 offset:200 ; 4-byte Folded Reload
	buffer_load_dword v34, off, s[60:63], 0 offset:204 ; 4-byte Folded Reload
	v_add_f64 v[110:111], v[36:37], v[110:111]
	s_waitcnt vmcnt(0)
	v_add_f64 v[120:121], v[120:121], -v[33:34]
	buffer_load_dword v33, off, s[60:63], 0 offset:80 ; 4-byte Folded Reload
	buffer_load_dword v34, off, s[60:63], 0 offset:84 ; 4-byte Folded Reload
	v_add_f64 v[110:111], v[120:121], v[110:111]
	v_mul_f64 v[120:121], v[241:242], s[22:23]
	s_waitcnt vmcnt(0)
	v_add_f64 v[112:113], v[33:34], v[112:113]
	buffer_load_dword v33, off, s[60:63], 0 offset:296 ; 4-byte Folded Reload
	buffer_load_dword v34, off, s[60:63], 0 offset:300 ; 4-byte Folded Reload
	v_add_f64 v[112:113], v[38:39], v[112:113]
	s_waitcnt vmcnt(0)
	v_add_f64 v[153:154], v[153:154], -v[33:34]
	buffer_load_dword v33, off, s[60:63], 0 offset:192 ; 4-byte Folded Reload
	buffer_load_dword v34, off, s[60:63], 0 offset:196 ; 4-byte Folded Reload
	v_add_f64 v[110:111], v[153:154], v[110:111]
	v_mul_f64 v[153:154], v[133:134], s[14:15]
	v_add_f64 v[110:111], v[161:162], v[110:111]
	v_mul_f64 v[161:162], v[165:166], s[18:19]
	v_add_f64 v[110:111], v[169:170], v[110:111]
	v_add_f64 v[92:93], v[92:93], v[110:111]
	;; [unrolled: 1-line block ×3, first 2 shown]
	s_waitcnt vmcnt(0)
	v_add_f64 v[122:123], v[33:34], v[122:123]
	buffer_load_dword v33, off, s[60:63], 0 offset:280 ; 4-byte Folded Reload
	buffer_load_dword v34, off, s[60:63], 0 offset:284 ; 4-byte Folded Reload
	v_add_f64 v[112:113], v[122:123], v[112:113]
	v_mul_f64 v[122:123], v[241:242], s[16:17]
	s_waitcnt vmcnt(0)
	v_add_f64 v[155:156], v[33:34], v[155:156]
	buffer_load_dword v33, off, s[60:63], 0 offset:392 ; 4-byte Folded Reload
	buffer_load_dword v34, off, s[60:63], 0 offset:396 ; 4-byte Folded Reload
	v_add_f64 v[112:113], v[155:156], v[112:113]
	v_mul_f64 v[155:156], v[133:134], s[4:5]
	v_mul_f64 v[133:134], v[133:134], s[10:11]
	v_add_f64 v[70:71], v[133:134], -v[151:152]
	s_waitcnt vmcnt(0)
	v_add_f64 v[185:186], v[33:34], v[185:186]
	buffer_load_dword v33, off, s[60:63], 0 offset:488 ; 4-byte Folded Reload
	buffer_load_dword v34, off, s[60:63], 0 offset:492 ; 4-byte Folded Reload
	v_add_f64 v[112:113], v[185:186], v[112:113]
	v_mul_f64 v[185:186], v[165:166], s[2:3]
	v_mul_f64 v[165:166], v[165:166], s[14:15]
	v_add_f64 v[56:57], v[185:186], -v[195:196]
	v_add_f64 v[68:69], v[165:166], -v[207:208]
	s_waitcnt vmcnt(0)
	v_add_f64 v[199:200], v[33:34], v[199:200]
	buffer_load_dword v33, off, s[60:63], 0 offset:56 ; 4-byte Folded Reload
	buffer_load_dword v34, off, s[60:63], 0 offset:60 ; 4-byte Folded Reload
	v_add_f64 v[96:97], v[199:200], v[112:113]
	v_add_f64 v[112:113], v[149:150], v[135:136]
	;; [unrolled: 1-line block ×6, first 2 shown]
	s_waitcnt vmcnt(0)
	v_add_f64 v[116:117], v[33:34], v[157:158]
	buffer_load_dword v33, off, s[60:63], 0 offset:40 ; 4-byte Folded Reload
	buffer_load_dword v34, off, s[60:63], 0 offset:44 ; 4-byte Folded Reload
	v_add_f64 v[38:39], v[38:39], v[116:117]
	s_waitcnt vmcnt(0)
	v_add_f64 v[44:45], v[137:138], -v[33:34]
	buffer_load_dword v33, off, s[60:63], 0 offset:72 ; 4-byte Folded Reload
	buffer_load_dword v34, off, s[60:63], 0 offset:76 ; 4-byte Folded Reload
	v_add_f64 v[44:45], v[36:37], v[44:45]
	s_waitcnt vmcnt(0)
	v_add_f64 v[46:47], v[114:115], -v[33:34]
	;; [unrolled: 5-line block ×3, first 2 shown]
	buffer_load_dword v33, off, s[60:63], 0 offset:136 ; 4-byte Folded Reload
	buffer_load_dword v34, off, s[60:63], 0 offset:140 ; 4-byte Folded Reload
	v_add_f64 v[36:37], v[112:113], v[36:37]
	s_waitcnt vmcnt(0)
	v_add_f64 v[114:115], v[33:34], v[171:172]
	buffer_load_dword v33, off, s[60:63], 0 offset:128 ; 4-byte Folded Reload
	buffer_load_dword v34, off, s[60:63], 0 offset:132 ; 4-byte Folded Reload
	v_add_f64 v[38:39], v[114:115], v[38:39]
	s_waitcnt vmcnt(0)
	v_add_f64 v[116:117], v[141:142], -v[33:34]
	buffer_load_dword v33, off, s[60:63], 0 offset:248 ; 4-byte Folded Reload
	buffer_load_dword v34, off, s[60:63], 0 offset:252 ; 4-byte Folded Reload
	v_add_f64 v[44:45], v[116:117], v[44:45]
	s_waitcnt vmcnt(0)
	v_add_f64 v[46:47], v[181:182], -v[33:34]
	buffer_load_dword v33, off, s[60:63], 0 offset:232 ; 4-byte Folded Reload
	buffer_load_dword v34, off, s[60:63], 0 offset:236 ; 4-byte Folded Reload
	v_add_f64 v[36:37], v[46:47], v[36:37]
	s_waitcnt vmcnt(0)
	v_add_f64 v[48:49], v[33:34], v[175:176]
	buffer_load_dword v33, off, s[60:63], 0 offset:224 ; 4-byte Folded Reload
	buffer_load_dword v34, off, s[60:63], 0 offset:228 ; 4-byte Folded Reload
	v_add_f64 v[38:39], v[48:49], v[38:39]
	s_waitcnt vmcnt(0)
	v_add_f64 v[50:51], v[173:174], -v[33:34]
	buffer_load_dword v33, off, s[60:63], 0 offset:352 ; 4-byte Folded Reload
	buffer_load_dword v34, off, s[60:63], 0 offset:356 ; 4-byte Folded Reload
	v_add_f64 v[44:45], v[50:51], v[44:45]
	s_waitcnt vmcnt(0)
	v_add_f64 v[52:53], v[183:184], -v[33:34]
	buffer_load_dword v33, off, s[60:63], 0 offset:336 ; 4-byte Folded Reload
	buffer_load_dword v34, off, s[60:63], 0 offset:340 ; 4-byte Folded Reload
	v_add_f64 v[36:37], v[52:53], v[36:37]
	v_add_f64 v[52:53], v[253:254], v[203:204]
	s_waitcnt vmcnt(0)
	v_add_f64 v[54:55], v[33:34], v[189:190]
	buffer_load_dword v33, off, s[60:63], 0 offset:328 ; 4-byte Folded Reload
	buffer_load_dword v34, off, s[60:63], 0 offset:332 ; 4-byte Folded Reload
	v_add_f64 v[38:39], v[54:55], v[38:39]
	s_waitcnt vmcnt(0)
	v_add_f64 v[48:49], v[187:188], -v[33:34]
	buffer_load_dword v33, off, s[60:63], 0 offset:456 ; 4-byte Folded Reload
	buffer_load_dword v34, off, s[60:63], 0 offset:460 ; 4-byte Folded Reload
	v_add_f64 v[44:45], v[48:49], v[44:45]
	v_add_f64 v[48:49], v[122:123], -v[106:107]
	s_waitcnt vmcnt(0)
	v_add_f64 v[46:47], v[197:198], -v[33:34]
	buffer_load_dword v33, off, s[60:63], 0 offset:440 ; 4-byte Folded Reload
	buffer_load_dword v34, off, s[60:63], 0 offset:444 ; 4-byte Folded Reload
	v_add_f64 v[36:37], v[46:47], v[36:37]
	v_add_f64 v[46:47], v[155:156], -v[145:146]
	v_add_f64 v[36:37], v[48:49], v[36:37]
	v_add_f64 v[48:49], v[179:180], v[215:216]
	;; [unrolled: 1-line block ×3, first 2 shown]
	s_waitcnt vmcnt(0)
	v_add_f64 v[50:51], v[33:34], v[193:194]
	buffer_load_dword v33, off, s[60:63], 0 offset:432 ; 4-byte Folded Reload
	buffer_load_dword v34, off, s[60:63], 0 offset:436 ; 4-byte Folded Reload
	v_add_f64 v[38:39], v[50:51], v[38:39]
	v_add_f64 v[50:51], v[120:121], -v[251:252]
	v_add_f64 v[38:39], v[52:53], v[38:39]
	v_add_f64 v[52:53], v[153:154], -v[139:140]
	s_waitcnt vmcnt(0)
	v_add_f64 v[54:55], v[191:192], -v[33:34]
	v_add_f64 v[44:45], v[54:55], v[44:45]
	v_add_f64 v[54:55], v[143:144], v[213:214]
	;; [unrolled: 1-line block ×4, first 2 shown]
	v_add_f64 v[54:55], v[161:162], -v[177:178]
	v_add_f64 v[38:39], v[88:89], v[104:105]
	v_add_f64 v[88:89], v[100:101], v[102:103]
	;; [unrolled: 1-line block ×11, first 2 shown]
	ds_write_b128 v0, v[48:51]
	ds_write_b128 v0, v[44:47] offset:16
	ds_write_b128 v0, v[40:43] offset:32
	ds_write_b128 v0, v[36:39] offset:48
	ds_write_b128 v0, v[96:99] offset:64
	ds_write_b128 v0, v[92:95] offset:80
	ds_write_b128 v0, v[88:91] offset:96
	ds_write_b128 v0, v[84:87] offset:112
	ds_write_b128 v0, v[25:28] offset:128
	ds_write_b128 v0, v[29:32] offset:144
	ds_write_b128 v0, v[21:24] offset:160
	ds_write_b128 v0, v[17:20] offset:176
	ds_write_b128 v0, v[13:16] offset:192
	ds_write_b128 v0, v[9:12] offset:208
	ds_write_b128 v0, v[5:8] offset:224
	ds_write_b128 v0, v[1:4] offset:240
	ds_write_b128 v0, v[245:248] offset:256
.LBB0_7:
	s_or_b64 exec, exec, s[24:25]
	v_mov_b32_e32 v37, s9
	s_movk_i32 s4, 0x70
	v_mov_b32_e32 v36, s8
	v_mad_u64_u32 v[64:65], s[4:5], v255, s4, v[36:37]
	s_load_dwordx4 s[0:3], s[0:1], 0x0
	s_waitcnt lgkmcnt(0)
	s_barrier
	global_load_dwordx4 v[48:51], v[64:65], off
	global_load_dwordx4 v[44:47], v[64:65], off offset:16
	global_load_dwordx4 v[40:43], v[64:65], off offset:32
	;; [unrolled: 1-line block ×6, first 2 shown]
	buffer_load_dword v0, off, s[60:63], 0 offset:4 ; 4-byte Folded Reload
	v_add_lshl_u32 v198, v235, v255, 4
	ds_read_b128 v[64:67], v198
	ds_read_b128 v[68:71], v198 offset:272
	ds_read_b128 v[72:75], v198 offset:544
	;; [unrolled: 1-line block ×7, first 2 shown]
	s_mov_b32 s4, 0x667f3bcd
	s_mov_b32 s5, 0xbfe6a09e
	;; [unrolled: 1-line block ×4, first 2 shown]
	s_waitcnt vmcnt(7) lgkmcnt(6)
	v_mul_f64 v[96:97], v[70:71], v[50:51]
	v_mul_f64 v[98:99], v[68:69], v[50:51]
	s_waitcnt vmcnt(6) lgkmcnt(5)
	v_mul_f64 v[100:101], v[74:75], v[46:47]
	v_mul_f64 v[102:103], v[72:73], v[46:47]
	;; [unrolled: 3-line block ×7, first 2 shown]
	v_fma_f64 v[68:69], v[68:69], v[48:49], -v[96:97]
	v_fma_f64 v[70:71], v[70:71], v[48:49], v[98:99]
	v_fma_f64 v[72:73], v[72:73], v[44:45], -v[100:101]
	v_fma_f64 v[74:75], v[74:75], v[44:45], v[102:103]
	;; [unrolled: 2-line block ×7, first 2 shown]
	v_add_f64 v[80:81], v[64:65], -v[80:81]
	v_add_f64 v[82:83], v[66:67], -v[82:83]
	;; [unrolled: 1-line block ×8, first 2 shown]
	v_fma_f64 v[64:65], v[64:65], 2.0, -v[80:81]
	v_fma_f64 v[66:67], v[66:67], 2.0, -v[82:83]
	;; [unrolled: 1-line block ×6, first 2 shown]
	v_add_f64 v[96:97], v[80:81], -v[90:91]
	v_add_f64 v[98:99], v[82:83], v[88:89]
	v_fma_f64 v[76:77], v[76:77], 2.0, -v[92:93]
	v_fma_f64 v[78:79], v[78:79], 2.0, -v[94:95]
	v_add_f64 v[88:89], v[84:85], -v[94:95]
	v_add_f64 v[90:91], v[86:87], v[92:93]
	v_add_f64 v[100:101], v[64:65], -v[72:73]
	v_add_f64 v[102:103], v[66:67], -v[74:75]
	v_fma_f64 v[104:105], v[80:81], 2.0, -v[96:97]
	v_fma_f64 v[106:107], v[82:83], 2.0, -v[98:99]
	v_add_f64 v[72:73], v[68:69], -v[76:77]
	v_add_f64 v[74:75], v[70:71], -v[78:79]
	v_fma_f64 v[76:77], v[84:85], 2.0, -v[88:89]
	v_fma_f64 v[78:79], v[86:87], 2.0, -v[90:91]
	v_fma_f64 v[84:85], v[88:89], s[8:9], v[96:97]
	v_fma_f64 v[86:87], v[90:91], s[8:9], v[98:99]
	v_fma_f64 v[64:65], v[64:65], 2.0, -v[100:101]
	v_fma_f64 v[66:67], v[66:67], 2.0, -v[102:103]
	;; [unrolled: 1-line block ×4, first 2 shown]
	v_fma_f64 v[108:109], v[76:77], s[4:5], v[104:105]
	v_fma_f64 v[110:111], v[78:79], s[4:5], v[106:107]
	v_add_f64 v[80:81], v[100:101], -v[74:75]
	v_add_f64 v[82:83], v[102:103], v[72:73]
	v_fma_f64 v[92:93], v[90:91], s[4:5], v[84:85]
	v_fma_f64 v[94:95], v[88:89], s[8:9], v[86:87]
	v_add_f64 v[72:73], v[64:65], -v[68:69]
	v_add_f64 v[74:75], v[66:67], -v[70:71]
	v_fma_f64 v[88:89], v[78:79], s[4:5], v[108:109]
	v_fma_f64 v[90:91], v[76:77], s[8:9], v[110:111]
	v_fma_f64 v[68:69], v[100:101], 2.0, -v[80:81]
	v_fma_f64 v[70:71], v[102:103], 2.0, -v[82:83]
	;; [unrolled: 1-line block ×8, first 2 shown]
	s_waitcnt vmcnt(0)
	v_lshl_add_u32 v197, v255, 4, v0
	ds_write_b128 v197, v[80:83] offset:1632
	ds_write_b128 v197, v[92:95] offset:1904
	;; [unrolled: 1-line block ×6, first 2 shown]
	ds_write_b128 v197, v[64:67]
	ds_write_b128 v197, v[76:79] offset:272
	s_waitcnt lgkmcnt(0)
	s_barrier
	s_and_saveexec_b64 s[4:5], vcc
	s_cbranch_execz .LBB0_9
; %bb.8:
	buffer_load_dword v0, off, s[60:63], 0  ; 4-byte Folded Reload
	global_load_dwordx4 v[100:103], v240, s[6:7] offset:2176
	s_add_u32 s8, s6, 0x880
	s_addc_u32 s9, s7, 0
	s_waitcnt vmcnt(1)
	ds_read_b128 v[96:99], v0
	s_waitcnt vmcnt(0) lgkmcnt(0)
	v_mul_f64 v[104:105], v[98:99], v[102:103]
	v_fma_f64 v[104:105], v[96:97], v[100:101], -v[104:105]
	v_mul_f64 v[96:97], v[96:97], v[102:103]
	v_fma_f64 v[106:107], v[98:99], v[100:101], v[96:97]
	global_load_dwordx4 v[100:103], v240, s[8:9] offset:128
	ds_write_b128 v0, v[104:107]
	ds_read_b128 v[96:99], v197 offset:128
	s_waitcnt vmcnt(0) lgkmcnt(0)
	v_mul_f64 v[104:105], v[98:99], v[102:103]
	v_fma_f64 v[104:105], v[96:97], v[100:101], -v[104:105]
	v_mul_f64 v[96:97], v[96:97], v[102:103]
	v_fma_f64 v[106:107], v[98:99], v[100:101], v[96:97]
	global_load_dwordx4 v[100:103], v240, s[8:9] offset:256
	ds_read_b128 v[96:99], v197 offset:256
	ds_write_b128 v197, v[104:107] offset:128
	s_waitcnt vmcnt(0) lgkmcnt(1)
	v_mul_f64 v[104:105], v[98:99], v[102:103]
	v_fma_f64 v[104:105], v[96:97], v[100:101], -v[104:105]
	v_mul_f64 v[96:97], v[96:97], v[102:103]
	v_fma_f64 v[106:107], v[98:99], v[100:101], v[96:97]
	global_load_dwordx4 v[100:103], v240, s[8:9] offset:384
	ds_read_b128 v[96:99], v197 offset:384
	ds_write_b128 v197, v[104:107] offset:256
	;; [unrolled: 8-line block ×15, first 2 shown]
	s_waitcnt vmcnt(0) lgkmcnt(1)
	v_mul_f64 v[104:105], v[98:99], v[102:103]
	v_fma_f64 v[104:105], v[96:97], v[100:101], -v[104:105]
	v_mul_f64 v[96:97], v[96:97], v[102:103]
	v_fma_f64 v[106:107], v[98:99], v[100:101], v[96:97]
	ds_write_b128 v197, v[104:107] offset:2048
.LBB0_9:
	s_or_b64 exec, exec, s[4:5]
	s_waitcnt lgkmcnt(0)
	s_barrier
	s_and_saveexec_b64 s[4:5], vcc
	s_cbranch_execz .LBB0_11
; %bb.10:
	buffer_load_dword v0, off, s[60:63], 0  ; 4-byte Folded Reload
	s_waitcnt vmcnt(0)
	ds_read_b128 v[64:67], v0
	ds_read_b128 v[76:79], v197 offset:128
	ds_read_b128 v[68:71], v197 offset:256
	;; [unrolled: 1-line block ×16, first 2 shown]
.LBB0_11:
	s_or_b64 exec, exec, s[4:5]
	s_waitcnt lgkmcnt(0)
	s_barrier
	s_and_saveexec_b64 s[4:5], vcc
	s_cbranch_execz .LBB0_13
; %bb.12:
	v_mov_b32_e32 v127, v8
	v_mov_b32_e32 v126, v7
	;; [unrolled: 1-line block ×4, first 2 shown]
	buffer_store_dword v124, off, s[60:63], 0 offset:40 ; 4-byte Folded Spill
	s_nop 0
	buffer_store_dword v125, off, s[60:63], 0 offset:44 ; 4-byte Folded Spill
	buffer_store_dword v126, off, s[60:63], 0 offset:48 ; 4-byte Folded Spill
	buffer_store_dword v127, off, s[60:63], 0 offset:52 ; 4-byte Folded Spill
	v_mov_b32_e32 v131, v12
	v_add_f64 v[157:158], v[72:73], -v[9:10]
	v_add_f64 v[147:148], v[7:8], v[86:87]
	v_add_f64 v[143:144], v[11:12], v[74:75]
	v_mov_b32_e32 v130, v11
	v_mov_b32_e32 v129, v10
	;; [unrolled: 1-line block ×4, first 2 shown]
	v_add_f64 v[135:136], v[25:26], -v[29:30]
	v_add_f64 v[133:134], v[27:28], v[31:32]
	v_mov_b32_e32 v9, v30
	v_mov_b32_e32 v10, v31
	;; [unrolled: 1-line block ×3, first 2 shown]
	v_add_f64 v[30:31], v[74:75], -v[130:131]
	buffer_store_dword v128, off, s[60:63], 0 offset:56 ; 4-byte Folded Spill
	s_nop 0
	buffer_store_dword v129, off, s[60:63], 0 offset:60 ; 4-byte Folded Spill
	buffer_store_dword v130, off, s[60:63], 0 offset:64 ; 4-byte Folded Spill
	;; [unrolled: 1-line block ×3, first 2 shown]
	v_mov_b32_e32 v167, v245
	v_mov_b32_e32 v168, v246
	v_add_f64 v[195:196], v[76:77], -v[167:168]
	s_mov_b32 s18, 0xacd6c6b4
	v_mov_b32_e32 v169, v247
	v_mov_b32_e32 v170, v248
	s_mov_b32 s19, 0xbfc7851a
	v_add_f64 v[193:194], v[68:69], -v[1:2]
	v_add_f64 v[149:150], v[169:170], v[78:79]
	s_mov_b32 s38, 0x5d8e7cdc
	v_mul_f64 v[98:99], v[195:196], s[18:19]
	s_mov_b32 s14, 0x7faef3
	s_mov_b32 s39, 0x3fd71e95
	;; [unrolled: 1-line block ×3, first 2 shown]
	v_add_f64 v[159:160], v[84:85], -v[5:6]
	v_mul_f64 v[102:103], v[193:194], s[38:39]
	v_add_f64 v[145:146], v[70:71], v[3:4]
	s_mov_b32 s24, 0x4363dd80
	v_fma_f64 v[104:105], v[149:150], s[14:15], v[98:99]
	s_mov_b32 s20, 0x370991
	s_mov_b32 s25, 0xbfe0d888
	;; [unrolled: 1-line block ×3, first 2 shown]
	v_mul_f64 v[106:107], v[159:160], s[24:25]
	s_mov_b32 s46, 0x2a9d6da3
	v_fma_f64 v[108:109], v[145:146], s[20:21], v[102:103]
	s_mov_b32 s16, 0x910ea3b9
	v_add_f64 v[104:105], v[66:67], v[104:105]
	s_mov_b32 s47, 0x3fe58eea
	s_mov_b32 s17, 0xbfeb34fa
	v_add_f64 v[155:156], v[88:89], -v[13:14]
	v_mul_f64 v[110:111], v[157:158], s[46:47]
	v_fma_f64 v[112:113], v[147:148], s[16:17], v[106:107]
	s_mov_b32 s28, 0x6c9a05f6
	s_mov_b32 s22, 0x75d4884
	v_add_f64 v[104:105], v[108:109], v[104:105]
	s_mov_b32 s29, 0xbfe9895b
	s_mov_b32 s23, 0x3fe7a5f6
	v_add_f64 v[151:152], v[80:81], -v[17:18]
	v_mul_f64 v[108:109], v[155:156], s[28:29]
	v_add_f64 v[141:142], v[90:91], v[15:16]
	v_fma_f64 v[114:115], v[143:144], s[22:23], v[110:111]
	v_add_f64 v[32:33], v[78:79], -v[169:170]
	v_add_f64 v[104:105], v[112:113], v[104:105]
	s_mov_b32 s42, 0x7c9e640b
	s_mov_b32 s26, 0x6ed5f1bb
	;; [unrolled: 1-line block ×4, first 2 shown]
	v_mul_f64 v[112:113], v[151:152], s[42:43]
	v_add_f64 v[139:140], v[19:20], v[82:83]
	v_fma_f64 v[116:117], v[141:142], s[26:27], v[108:109]
	v_add_f64 v[104:105], v[114:115], v[104:105]
	v_add_f64 v[234:235], v[70:71], -v[3:4]
	v_add_f64 v[165:166], v[167:168], v[76:77]
	v_mul_f64 v[114:115], v[32:33], s[18:19]
	s_mov_b32 s34, 0x2b2883cd
	s_mov_b32 s35, 0x3fdc86fa
	v_fma_f64 v[118:119], v[139:140], s[34:35], v[112:113]
	v_add_f64 v[163:164], v[68:69], v[1:2]
	v_add_f64 v[104:105], v[116:117], v[104:105]
	v_mul_f64 v[116:117], v[234:235], s[38:39]
	v_add_f64 v[34:35], v[90:91], -v[15:16]
	v_add_f64 v[171:172], v[86:87], -v[126:127]
	v_fma_f64 v[120:121], v[165:166], s[14:15], -v[114:115]
	v_add_f64 v[161:162], v[124:125], v[84:85]
	v_fma_f64 v[98:99], v[149:150], s[14:15], -v[98:99]
	v_mul_f64 v[126:127], v[30:31], s[46:47]
	v_add_f64 v[104:105], v[118:119], v[104:105]
	v_fma_f64 v[124:125], v[163:164], s[20:21], -v[116:117]
	v_fma_f64 v[114:115], v[165:166], s[14:15], v[114:115]
	v_mul_f64 v[118:119], v[171:172], s[24:25]
	v_add_f64 v[120:121], v[64:65], v[120:121]
	v_add_f64 v[191:192], v[82:83], -v[19:20]
	v_fma_f64 v[102:103], v[145:146], s[20:21], -v[102:103]
	v_add_f64 v[98:99], v[66:67], v[98:99]
	v_add_f64 v[189:190], v[88:89], v[13:14]
	v_fma_f64 v[116:117], v[163:164], s[20:21], v[116:117]
	v_add_f64 v[173:174], v[128:129], v[72:73]
	v_fma_f64 v[128:129], v[161:162], s[16:17], -v[118:119]
	v_add_f64 v[120:121], v[124:125], v[120:121]
	v_mul_f64 v[124:125], v[34:35], s[28:29]
	v_add_f64 v[114:115], v[64:65], v[114:115]
	v_add_f64 v[137:138], v[92:93], -v[21:22]
	v_fma_f64 v[106:107], v[147:148], s[16:17], -v[106:107]
	v_add_f64 v[98:99], v[102:103], v[98:99]
	v_fma_f64 v[130:131], v[173:174], s[22:23], -v[126:127]
	v_add_f64 v[187:188], v[17:18], v[80:81]
	v_add_f64 v[120:121], v[128:129], v[120:121]
	v_mul_f64 v[102:103], v[191:192], s[42:43]
	v_fma_f64 v[128:129], v[189:190], s[26:27], -v[124:125]
	v_fma_f64 v[118:119], v[161:162], s[16:17], v[118:119]
	v_add_f64 v[114:115], v[116:117], v[114:115]
	s_mov_b32 s10, 0x923c349f
	s_mov_b32 s11, 0xbfeec746
	v_mul_f64 v[96:97], v[137:138], s[10:11]
	v_add_f64 v[120:121], v[130:131], v[120:121]
	v_add_f64 v[153:154], v[94:95], v[23:24]
	v_add_f64 v[185:186], v[94:95], -v[23:24]
	v_fma_f64 v[110:111], v[143:144], s[22:23], -v[110:111]
	v_add_f64 v[98:99], v[106:107], v[98:99]
	v_fma_f64 v[116:117], v[187:188], s[34:35], -v[102:103]
	v_fma_f64 v[126:127], v[173:174], s[22:23], v[126:127]
	v_add_f64 v[114:115], v[118:119], v[114:115]
	v_add_f64 v[120:121], v[128:129], v[120:121]
	s_mov_b32 s50, 0xeb564b22
	s_mov_b32 s30, 0xc61f0d01
	;; [unrolled: 1-line block ×4, first 2 shown]
	v_mul_f64 v[100:101], v[135:136], s[50:51]
	v_fma_f64 v[122:123], v[153:154], s[30:31], v[96:97]
	v_add_f64 v[181:182], v[27:28], -v[10:11]
	v_add_f64 v[183:184], v[92:93], v[21:22]
	v_mul_f64 v[106:107], v[185:186], s[10:11]
	v_fma_f64 v[108:109], v[141:142], s[26:27], -v[108:109]
	v_add_f64 v[98:99], v[110:111], v[98:99]
	v_add_f64 v[116:117], v[116:117], v[120:121]
	v_fma_f64 v[120:121], v[189:190], s[26:27], v[124:125]
	v_add_f64 v[114:115], v[126:127], v[114:115]
	s_mov_b32 s8, 0x3259b75e
	s_mov_b32 s9, 0x3fb79ee6
	v_add_f64 v[179:180], v[25:26], v[8:9]
	v_mul_f64 v[110:111], v[181:182], s[50:51]
	v_fma_f64 v[118:119], v[183:184], s[30:31], -v[106:107]
	v_fma_f64 v[112:113], v[139:140], s[34:35], -v[112:113]
	v_add_f64 v[98:99], v[108:109], v[98:99]
	v_fma_f64 v[108:109], v[133:134], s[8:9], v[100:101]
	v_add_f64 v[104:105], v[122:123], v[104:105]
	v_fma_f64 v[102:103], v[187:188], s[34:35], v[102:103]
	v_add_f64 v[114:115], v[120:121], v[114:115]
	v_fma_f64 v[122:123], v[179:180], s[8:9], -v[110:111]
	v_add_f64 v[116:117], v[118:119], v[116:117]
	v_fma_f64 v[118:119], v[153:154], s[30:31], -v[96:97]
	v_add_f64 v[112:113], v[112:113], v[98:99]
	v_mul_f64 v[126:127], v[193:194], s[42:43]
	v_add_f64 v[98:99], v[108:109], v[104:105]
	v_fma_f64 v[104:105], v[183:184], s[30:31], v[106:107]
	v_add_f64 v[102:103], v[102:103], v[114:115]
	v_mul_f64 v[199:200], v[234:235], s[42:43]
	v_add_f64 v[96:97], v[122:123], v[116:117]
	v_mul_f64 v[122:123], v[32:33], s[24:25]
	s_mov_b32 s41, 0xbfefdd0d
	s_mov_b32 s40, s50
	v_mul_f64 v[203:204], v[159:160], s[40:41]
	v_fma_f64 v[205:206], v[145:146], s[34:35], v[126:127]
	v_add_f64 v[102:103], v[104:105], v[102:103]
	v_mul_f64 v[104:105], v[195:196], s[24:25]
	v_mul_f64 v[207:208], v[171:172], s[40:41]
	v_fma_f64 v[201:202], v[165:166], s[16:17], -v[122:123]
	v_fma_f64 v[209:210], v[163:164], s[34:35], -v[199:200]
	v_fma_f64 v[122:123], v[165:166], s[16:17], v[122:123]
	s_mov_b32 s55, 0x3fe9895b
	s_mov_b32 s54, s28
	v_mul_f64 v[130:131], v[157:158], s[54:55]
	v_fma_f64 v[128:129], v[149:150], s[16:17], v[104:105]
	v_fma_f64 v[104:105], v[149:150], s[16:17], -v[104:105]
	v_add_f64 v[201:202], v[64:65], v[201:202]
	v_fma_f64 v[213:214], v[147:148], s[8:9], v[203:204]
	v_fma_f64 v[215:216], v[161:162], s[8:9], -v[207:208]
	v_fma_f64 v[126:127], v[145:146], s[34:35], -v[126:127]
	v_fma_f64 v[199:200], v[163:164], s[34:35], v[199:200]
	v_add_f64 v[122:123], v[64:65], v[122:123]
	v_add_f64 v[128:129], v[66:67], v[128:129]
	;; [unrolled: 1-line block ×4, first 2 shown]
	s_mov_b32 s37, 0xbfd71e95
	s_mov_b32 s36, s38
	v_mul_f64 v[114:115], v[155:156], s[36:37]
	v_fma_f64 v[211:212], v[143:144], s[26:27], v[130:131]
	v_mul_f64 v[209:210], v[34:35], s[36:37]
	v_add_f64 v[128:129], v[205:206], v[128:129]
	v_mul_f64 v[205:206], v[30:31], s[54:55]
	v_add_f64 v[201:202], v[215:216], v[201:202]
	v_fma_f64 v[203:204], v[147:148], s[8:9], -v[203:204]
	v_add_f64 v[104:105], v[126:127], v[104:105]
	v_fma_f64 v[126:127], v[161:162], s[8:9], v[207:208]
	v_add_f64 v[122:123], v[199:200], v[122:123]
	v_add_f64 v[106:107], v[118:119], v[112:113]
	;; [unrolled: 1-line block ×3, first 2 shown]
	v_fma_f64 v[213:214], v[173:174], s[26:27], -v[205:206]
	v_mul_f64 v[112:113], v[151:152], s[18:19]
	v_fma_f64 v[124:125], v[141:142], s[20:21], v[114:115]
	v_mul_f64 v[199:200], v[191:192], s[18:19]
	v_fma_f64 v[207:208], v[189:190], s[20:21], -v[209:210]
	v_fma_f64 v[130:131], v[143:144], s[26:27], -v[130:131]
	v_add_f64 v[104:105], v[203:204], v[104:105]
	v_add_f64 v[128:129], v[211:212], v[128:129]
	;; [unrolled: 1-line block ×3, first 2 shown]
	v_fma_f64 v[203:204], v[173:174], s[26:27], v[205:206]
	v_add_f64 v[122:123], v[126:127], v[122:123]
	v_mul_f64 v[108:109], v[137:138], s[46:47]
	v_fma_f64 v[120:121], v[139:140], s[14:15], v[112:113]
	v_mul_f64 v[126:127], v[185:186], s[46:47]
	v_fma_f64 v[114:115], v[141:142], s[20:21], -v[114:115]
	v_add_f64 v[124:125], v[124:125], v[128:129]
	v_fma_f64 v[128:129], v[187:188], s[14:15], -v[199:200]
	v_add_f64 v[201:202], v[207:208], v[201:202]
	v_add_f64 v[104:105], v[130:131], v[104:105]
	v_fma_f64 v[130:131], v[189:190], s[20:21], v[209:210]
	v_add_f64 v[122:123], v[203:204], v[122:123]
	v_fma_f64 v[118:119], v[153:154], s[22:23], v[108:109]
	v_fma_f64 v[203:204], v[183:184], s[22:23], -v[126:127]
	v_add_f64 v[120:121], v[120:121], v[124:125]
	v_mul_f64 v[124:125], v[181:182], s[10:11]
	v_add_f64 v[128:129], v[128:129], v[201:202]
	v_add_f64 v[104:105], v[114:115], v[104:105]
	v_fma_f64 v[114:115], v[187:188], s[14:15], v[199:200]
	v_add_f64 v[122:123], v[130:131], v[122:123]
	v_fma_f64 v[100:101], v[133:134], s[8:9], -v[100:101]
	v_fma_f64 v[110:111], v[179:180], s[8:9], v[110:111]
	v_mul_f64 v[116:117], v[135:136], s[10:11]
	v_fma_f64 v[112:113], v[139:140], s[14:15], -v[112:113]
	v_add_f64 v[118:119], v[118:119], v[120:121]
	v_fma_f64 v[120:121], v[179:180], s[30:31], -v[124:125]
	v_add_f64 v[128:129], v[203:204], v[128:129]
	v_fma_f64 v[126:127], v[183:184], s[22:23], v[126:127]
	v_add_f64 v[114:115], v[114:115], v[122:123]
	v_add_f64 v[106:107], v[100:101], v[106:107]
	v_fma_f64 v[130:131], v[133:134], s[30:31], v[116:117]
	v_add_f64 v[112:113], v[112:113], v[104:105]
	v_add_f64 v[104:105], v[110:111], v[102:103]
	v_fma_f64 v[110:111], v[133:134], s[30:31], -v[116:117]
	v_add_f64 v[100:101], v[120:121], v[128:129]
	v_mul_f64 v[120:121], v[195:196], s[28:29]
	v_add_f64 v[116:117], v[126:127], v[114:115]
	v_mul_f64 v[126:127], v[32:33], s[28:29]
	s_mov_b32 s53, 0x3feec746
	s_mov_b32 s52, s10
	v_mul_f64 v[128:129], v[193:194], s[52:53]
	v_mul_f64 v[203:204], v[234:235], s[52:53]
	;; [unrolled: 1-line block ×3, first 2 shown]
	v_fma_f64 v[199:200], v[149:150], s[26:27], v[120:121]
	v_fma_f64 v[120:121], v[149:150], s[26:27], -v[120:121]
	v_fma_f64 v[205:206], v[165:166], s[26:27], -v[126:127]
	v_mul_f64 v[213:214], v[171:172], s[36:37]
	v_fma_f64 v[108:109], v[153:154], s[22:23], -v[108:109]
	v_fma_f64 v[211:212], v[145:146], s[30:31], v[128:129]
	v_fma_f64 v[215:216], v[163:164], s[30:31], -v[203:204]
	v_fma_f64 v[128:129], v[145:146], s[30:31], -v[128:129]
	v_add_f64 v[199:200], v[66:67], v[199:200]
	v_add_f64 v[120:121], v[66:67], v[120:121]
	;; [unrolled: 1-line block ×3, first 2 shown]
	v_mul_f64 v[217:218], v[157:158], s[24:25]
	v_fma_f64 v[220:221], v[147:148], s[20:21], v[209:210]
	v_fma_f64 v[222:223], v[161:162], s[20:21], -v[213:214]
	v_fma_f64 v[209:210], v[147:148], s[20:21], -v[209:210]
	v_fma_f64 v[126:127], v[165:166], s[26:27], v[126:127]
	v_add_f64 v[199:200], v[211:212], v[199:200]
	v_mul_f64 v[211:212], v[30:31], s[24:25]
	v_add_f64 v[205:206], v[215:216], v[205:206]
	v_add_f64 v[120:121], v[128:129], v[120:121]
	;; [unrolled: 1-line block ×3, first 2 shown]
	v_fma_f64 v[112:113], v[179:180], s[30:31], v[124:125]
	v_mul_f64 v[124:125], v[155:156], s[50:51]
	v_fma_f64 v[215:216], v[143:144], s[16:17], v[217:218]
	v_add_f64 v[128:129], v[220:221], v[199:200]
	v_mul_f64 v[199:200], v[34:35], s[50:51]
	v_fma_f64 v[220:221], v[173:174], s[16:17], -v[211:212]
	v_add_f64 v[205:206], v[222:223], v[205:206]
	v_fma_f64 v[217:218], v[143:144], s[16:17], -v[217:218]
	v_fma_f64 v[203:204], v[163:164], s[30:31], v[203:204]
	v_add_f64 v[126:127], v[64:65], v[126:127]
	v_add_f64 v[120:121], v[209:210], v[120:121]
	s_mov_b32 s45, 0xbfe58eea
	s_mov_b32 s44, s46
	v_mul_f64 v[122:123], v[151:152], s[44:45]
	v_fma_f64 v[207:208], v[141:142], s[8:9], v[124:125]
	v_add_f64 v[128:129], v[215:216], v[128:129]
	v_mul_f64 v[209:210], v[191:192], s[44:45]
	v_fma_f64 v[215:216], v[189:190], s[8:9], -v[199:200]
	v_add_f64 v[205:206], v[220:221], v[205:206]
	v_fma_f64 v[124:125], v[141:142], s[8:9], -v[124:125]
	v_fma_f64 v[213:214], v[161:162], s[20:21], v[213:214]
	v_add_f64 v[126:127], v[203:204], v[126:127]
	v_add_f64 v[120:121], v[217:218], v[120:121]
	;; [unrolled: 1-line block ×3, first 2 shown]
	v_mul_f64 v[118:119], v[137:138], s[18:19]
	v_fma_f64 v[201:202], v[139:140], s[22:23], v[122:123]
	v_add_f64 v[128:129], v[207:208], v[128:129]
	v_mul_f64 v[203:204], v[185:186], s[18:19]
	v_fma_f64 v[207:208], v[187:188], s[22:23], -v[209:210]
	v_add_f64 v[205:206], v[215:216], v[205:206]
	v_fma_f64 v[122:123], v[139:140], s[22:23], -v[122:123]
	v_fma_f64 v[211:212], v[173:174], s[16:17], v[211:212]
	v_add_f64 v[126:127], v[213:214], v[126:127]
	v_add_f64 v[120:121], v[124:125], v[120:121]
	v_mul_f64 v[114:115], v[135:136], s[42:43]
	v_fma_f64 v[130:131], v[153:154], s[14:15], v[118:119]
	v_add_f64 v[124:125], v[201:202], v[128:129]
	v_mul_f64 v[128:129], v[181:182], s[42:43]
	v_fma_f64 v[201:202], v[183:184], s[14:15], -v[203:204]
	v_add_f64 v[205:206], v[207:208], v[205:206]
	v_fma_f64 v[118:119], v[153:154], s[14:15], -v[118:119]
	v_fma_f64 v[199:200], v[189:190], s[8:9], v[199:200]
	v_add_f64 v[126:127], v[211:212], v[126:127]
	v_add_f64 v[120:121], v[122:123], v[120:121]
	v_fma_f64 v[122:123], v[133:134], s[34:35], v[114:115]
	v_add_f64 v[124:125], v[130:131], v[124:125]
	v_fma_f64 v[130:131], v[179:180], s[34:35], -v[128:129]
	v_add_f64 v[201:202], v[201:202], v[205:206]
	v_fma_f64 v[207:208], v[187:188], s[22:23], v[209:210]
	s_mov_b32 s57, 0x3fe0d888
	v_add_f64 v[126:127], v[199:200], v[126:127]
	v_add_f64 v[118:119], v[118:119], v[120:121]
	v_mul_f64 v[120:121], v[195:196], s[10:11]
	s_mov_b32 s56, s24
	v_fma_f64 v[205:206], v[133:134], s[34:35], -v[114:115]
	v_add_f64 v[114:115], v[110:111], v[108:109]
	v_add_f64 v[112:113], v[112:113], v[116:117]
	;; [unrolled: 1-line block ×4, first 2 shown]
	v_fma_f64 v[116:117], v[183:184], s[14:15], v[203:204]
	v_add_f64 v[122:123], v[207:208], v[126:127]
	v_mul_f64 v[124:125], v[193:194], s[56:57]
	v_fma_f64 v[126:127], v[179:180], s[34:35], v[128:129]
	v_mul_f64 v[128:129], v[32:33], s[10:11]
	v_fma_f64 v[130:131], v[149:150], s[30:31], v[120:121]
	v_add_f64 v[118:119], v[205:206], v[118:119]
	v_mul_f64 v[205:206], v[234:235], s[56:57]
	s_mov_b32 s49, 0xbfeca52d
	v_add_f64 v[116:117], v[116:117], v[122:123]
	v_mul_f64 v[122:123], v[159:160], s[46:47]
	v_fma_f64 v[203:204], v[145:146], s[16:17], v[124:125]
	v_fma_f64 v[207:208], v[165:166], s[30:31], -v[128:129]
	v_add_f64 v[130:131], v[66:67], v[130:131]
	s_mov_b32 s48, s42
	v_mul_f64 v[209:210], v[157:158], s[48:49]
	v_mul_f64 v[213:214], v[171:172], s[46:47]
	v_fma_f64 v[215:216], v[163:164], s[16:17], -v[205:206]
	v_fma_f64 v[211:212], v[147:148], s[22:23], v[122:123]
	v_mul_f64 v[217:218], v[155:156], s[18:19]
	v_add_f64 v[207:208], v[64:65], v[207:208]
	v_add_f64 v[130:131], v[203:204], v[130:131]
	v_mul_f64 v[222:223], v[30:31], s[48:49]
	v_fma_f64 v[220:221], v[143:144], s[34:35], v[209:210]
	v_fma_f64 v[224:225], v[161:162], s[22:23], -v[213:214]
	v_fma_f64 v[120:121], v[149:150], s[30:31], -v[120:121]
	v_mul_f64 v[226:227], v[34:35], s[18:19]
	v_fma_f64 v[124:125], v[145:146], s[16:17], -v[124:125]
	v_add_f64 v[207:208], v[215:216], v[207:208]
	v_add_f64 v[130:131], v[211:212], v[130:131]
	v_mul_f64 v[211:212], v[151:152], s[50:51]
	v_fma_f64 v[215:216], v[141:142], s[14:15], v[217:218]
	v_fma_f64 v[228:229], v[173:174], s[34:35], -v[222:223]
	v_add_f64 v[120:121], v[66:67], v[120:121]
	v_mul_f64 v[201:202], v[137:138], s[36:37]
	v_fma_f64 v[230:231], v[189:190], s[14:15], -v[226:227]
	v_add_f64 v[207:208], v[224:225], v[207:208]
	v_add_f64 v[130:131], v[220:221], v[130:131]
	v_fma_f64 v[220:221], v[139:140], s[8:9], v[211:212]
	v_mul_f64 v[224:225], v[191:192], s[50:51]
	v_fma_f64 v[122:123], v[147:148], s[22:23], -v[122:123]
	v_fma_f64 v[128:129], v[165:166], s[30:31], v[128:129]
	v_add_f64 v[120:121], v[124:125], v[120:121]
	v_mul_f64 v[199:200], v[135:136], s[28:29]
	v_add_f64 v[124:125], v[228:229], v[207:208]
	v_add_f64 v[130:131], v[215:216], v[130:131]
	v_fma_f64 v[203:204], v[153:154], s[20:21], v[201:202]
	v_mul_f64 v[207:208], v[185:186], s[36:37]
	v_fma_f64 v[215:216], v[187:188], s[8:9], -v[224:225]
	v_fma_f64 v[209:210], v[143:144], s[34:35], -v[209:210]
	v_fma_f64 v[205:206], v[163:164], s[16:17], v[205:206]
	v_add_f64 v[128:129], v[64:65], v[128:129]
	v_add_f64 v[120:121], v[122:123], v[120:121]
	;; [unrolled: 1-line block ×4, first 2 shown]
	v_mul_f64 v[130:131], v[181:182], s[28:29]
	v_fma_f64 v[220:221], v[183:184], s[20:21], -v[207:208]
	v_fma_f64 v[217:218], v[141:142], s[14:15], -v[217:218]
	v_fma_f64 v[213:214], v[161:162], s[22:23], v[213:214]
	v_add_f64 v[128:129], v[205:206], v[128:129]
	v_add_f64 v[120:121], v[209:210], v[120:121]
	;; [unrolled: 1-line block ×3, first 2 shown]
	v_fma_f64 v[205:206], v[133:134], s[26:27], v[199:200]
	v_add_f64 v[124:125], v[203:204], v[124:125]
	v_fma_f64 v[203:204], v[179:180], s[26:27], -v[130:131]
	v_fma_f64 v[209:210], v[139:140], s[8:9], -v[211:212]
	v_fma_f64 v[211:212], v[173:174], s[34:35], v[222:223]
	v_add_f64 v[128:129], v[213:214], v[128:129]
	v_add_f64 v[120:121], v[217:218], v[120:121]
	;; [unrolled: 1-line block ×5, first 2 shown]
	v_fma_f64 v[124:125], v[153:154], s[20:21], -v[201:202]
	v_mul_f64 v[201:202], v[195:196], s[40:41]
	v_fma_f64 v[126:127], v[189:190], s[14:15], v[226:227]
	v_add_f64 v[128:129], v[211:212], v[128:129]
	v_add_f64 v[205:206], v[209:210], v[120:121]
	;; [unrolled: 1-line block ×3, first 2 shown]
	v_mul_f64 v[209:210], v[32:33], s[40:41]
	v_mul_f64 v[211:212], v[193:194], s[18:19]
	v_fma_f64 v[203:204], v[187:188], s[8:9], v[224:225]
	v_fma_f64 v[213:214], v[149:150], s[8:9], v[201:202]
	v_mul_f64 v[220:221], v[171:172], s[52:53]
	v_add_f64 v[126:127], v[126:127], v[128:129]
	v_add_f64 v[124:125], v[124:125], v[205:206]
	v_fma_f64 v[128:129], v[183:184], s[20:21], v[207:208]
	v_mul_f64 v[205:206], v[159:160], s[52:53]
	v_mul_f64 v[207:208], v[234:235], s[18:19]
	v_fma_f64 v[215:216], v[165:166], s[8:9], -v[209:210]
	v_fma_f64 v[217:218], v[145:146], s[14:15], v[211:212]
	v_add_f64 v[213:214], v[66:67], v[213:214]
	v_add_f64 v[126:127], v[203:204], v[126:127]
	v_fma_f64 v[203:204], v[179:180], s[26:27], v[130:131]
	v_mul_f64 v[130:131], v[157:158], s[38:39]
	v_fma_f64 v[224:225], v[147:148], s[30:31], v[205:206]
	v_fma_f64 v[222:223], v[163:164], s[14:15], -v[207:208]
	v_add_f64 v[215:216], v[64:65], v[215:216]
	v_fma_f64 v[201:202], v[149:150], s[8:9], -v[201:202]
	v_add_f64 v[213:214], v[217:218], v[213:214]
	v_add_f64 v[126:127], v[128:129], v[126:127]
	v_mul_f64 v[128:129], v[155:156], s[48:49]
	v_mul_f64 v[217:218], v[30:31], s[38:39]
	v_fma_f64 v[226:227], v[161:162], s[30:31], -v[220:221]
	v_fma_f64 v[211:212], v[145:146], s[14:15], -v[211:212]
	v_add_f64 v[215:216], v[222:223], v[215:216]
	v_fma_f64 v[222:223], v[143:144], s[20:21], v[130:131]
	v_add_f64 v[213:214], v[224:225], v[213:214]
	v_add_f64 v[201:202], v[66:67], v[201:202]
	v_mul_f64 v[224:225], v[151:152], s[24:25]
	v_mul_f64 v[228:229], v[34:35], s[48:49]
	v_fma_f64 v[230:231], v[173:174], s[20:21], -v[217:218]
	v_fma_f64 v[205:206], v[147:148], s[30:31], -v[205:206]
	v_add_f64 v[215:216], v[226:227], v[215:216]
	v_fma_f64 v[226:227], v[141:142], s[34:35], v[128:129]
	;; [unrolled: 8-line block ×3, first 2 shown]
	v_add_f64 v[213:214], v[226:227], v[213:214]
	v_add_f64 v[201:202], v[205:206], v[201:202]
	v_mul_f64 v[226:227], v[135:136], s[46:47]
	v_mul_f64 v[205:206], v[185:186], s[54:55]
	v_fma_f64 v[236:237], v[187:188], s[16:17], -v[211:212]
	v_fma_f64 v[209:210], v[165:166], s[8:9], v[209:210]
	v_add_f64 v[215:216], v[232:233], v[215:216]
	v_fma_f64 v[232:233], v[153:154], s[26:27], v[222:223]
	v_add_f64 v[213:214], v[230:231], v[213:214]
	v_fma_f64 v[128:129], v[141:142], s[34:35], -v[128:129]
	v_add_f64 v[130:131], v[130:131], v[201:202]
	v_fma_f64 v[199:200], v[133:134], s[26:27], -v[199:200]
	v_mul_f64 v[201:202], v[181:182], s[46:47]
	v_fma_f64 v[230:231], v[183:184], s[26:27], -v[205:206]
	v_add_f64 v[215:216], v[236:237], v[215:216]
	v_fma_f64 v[236:237], v[133:134], s[22:23], v[226:227]
	v_fma_f64 v[207:208], v[163:164], s[14:15], v[207:208]
	v_add_f64 v[209:210], v[64:65], v[209:210]
	v_fma_f64 v[224:225], v[139:140], s[16:17], -v[224:225]
	v_add_f64 v[128:129], v[128:129], v[130:131]
	v_add_f64 v[213:214], v[232:233], v[213:214]
	v_fma_f64 v[232:233], v[179:180], s[22:23], -v[201:202]
	v_add_f64 v[215:216], v[230:231], v[215:216]
	v_add_f64 v[130:131], v[199:200], v[124:125]
	v_fma_f64 v[199:200], v[161:162], s[30:31], v[220:221]
	v_add_f64 v[207:208], v[207:208], v[209:210]
	v_fma_f64 v[209:210], v[153:154], s[26:27], -v[222:223]
	v_add_f64 v[220:221], v[224:225], v[128:129]
	v_add_f64 v[128:129], v[203:204], v[126:127]
	;; [unrolled: 1-line block ×3, first 2 shown]
	v_mul_f64 v[213:214], v[195:196], s[48:49]
	v_add_f64 v[124:125], v[232:233], v[215:216]
	v_fma_f64 v[203:204], v[173:174], s[20:21], v[217:218]
	v_add_f64 v[199:200], v[199:200], v[207:208]
	v_mul_f64 v[215:216], v[32:33], s[48:49]
	v_add_f64 v[209:210], v[209:210], v[220:221]
	v_mul_f64 v[220:221], v[193:194], s[28:29]
	s_mov_b32 s51, 0x3fc7851a
	v_fma_f64 v[222:223], v[149:150], s[34:35], v[213:214]
	s_mov_b32 s50, s18
	v_fma_f64 v[207:208], v[133:134], s[22:23], -v[226:227]
	v_fma_f64 v[217:218], v[189:190], s[34:35], v[228:229]
	v_add_f64 v[199:200], v[203:204], v[199:200]
	v_mul_f64 v[224:225], v[234:235], s[28:29]
	v_fma_f64 v[203:204], v[165:166], s[34:35], -v[215:216]
	v_mul_f64 v[226:227], v[159:160], s[50:51]
	v_fma_f64 v[228:229], v[145:146], s[26:27], v[220:221]
	v_add_f64 v[222:223], v[66:67], v[222:223]
	v_fma_f64 v[211:212], v[187:188], s[16:17], v[211:212]
	v_mul_f64 v[232:233], v[157:158], s[52:53]
	v_add_f64 v[199:200], v[217:218], v[199:200]
	v_mul_f64 v[217:218], v[171:172], s[50:51]
	v_fma_f64 v[230:231], v[163:164], s[26:27], -v[224:225]
	v_add_f64 v[203:204], v[64:65], v[203:204]
	v_fma_f64 v[236:237], v[147:148], s[14:15], v[226:227]
	v_add_f64 v[222:223], v[228:229], v[222:223]
	v_fma_f64 v[213:214], v[149:150], s[34:35], -v[213:214]
	v_fma_f64 v[238:239], v[143:144], s[30:31], v[232:233]
	v_add_f64 v[199:200], v[211:212], v[199:200]
	v_mul_f64 v[211:212], v[30:31], s[52:53]
	v_fma_f64 v[228:229], v[161:162], s[14:15], -v[217:218]
	v_add_f64 v[203:204], v[230:231], v[203:204]
	v_mul_f64 v[230:231], v[155:156], s[46:47]
	v_add_f64 v[222:223], v[236:237], v[222:223]
	v_fma_f64 v[220:221], v[145:146], s[26:27], -v[220:221]
	v_add_f64 v[213:214], v[66:67], v[213:214]
	v_mul_f64 v[236:237], v[34:35], s[46:47]
	v_mov_b32_e32 v7, v240
	v_fma_f64 v[240:241], v[173:174], s[30:31], -v[211:212]
	v_add_f64 v[203:204], v[228:229], v[203:204]
	v_mul_f64 v[228:229], v[151:152], s[36:37]
	v_fma_f64 v[242:243], v[141:142], s[22:23], v[230:231]
	v_add_f64 v[222:223], v[238:239], v[222:223]
	v_fma_f64 v[226:227], v[147:148], s[14:15], -v[226:227]
	v_add_f64 v[213:214], v[220:221], v[213:214]
	v_fma_f64 v[244:245], v[189:190], s[22:23], -v[236:237]
	v_mul_f64 v[220:221], v[137:138], s[40:41]
	v_add_f64 v[203:204], v[240:241], v[203:204]
	v_fma_f64 v[240:241], v[139:140], s[20:21], v[228:229]
	v_fma_f64 v[232:233], v[143:144], s[30:31], -v[232:233]
	v_add_f64 v[222:223], v[242:243], v[222:223]
	v_fma_f64 v[205:206], v[183:184], s[26:27], v[205:206]
	v_add_f64 v[213:214], v[226:227], v[213:214]
	v_mul_f64 v[238:239], v[191:192], s[36:37]
	v_mul_f64 v[226:227], v[135:136], s[24:25]
	v_add_f64 v[203:204], v[244:245], v[203:204]
	v_fma_f64 v[244:245], v[153:154], s[8:9], v[220:221]
	v_fma_f64 v[230:231], v[141:142], s[22:23], -v[230:231]
	v_add_f64 v[222:223], v[240:241], v[222:223]
	v_mul_f64 v[242:243], v[185:186], s[40:41]
	v_add_f64 v[213:214], v[232:233], v[213:214]
	v_fma_f64 v[246:247], v[187:188], s[20:21], -v[238:239]
	v_fma_f64 v[232:233], v[179:180], s[22:23], v[201:202]
	v_add_f64 v[199:200], v[205:206], v[199:200]
	v_fma_f64 v[205:206], v[133:134], s[16:17], v[226:227]
	v_fma_f64 v[228:229], v[139:140], s[20:21], -v[228:229]
	v_add_f64 v[222:223], v[244:245], v[222:223]
	v_add_f64 v[201:202], v[207:208], v[209:210]
	;; [unrolled: 1-line block ×3, first 2 shown]
	v_fma_f64 v[207:208], v[165:166], s[34:35], v[215:216]
	v_mul_f64 v[215:216], v[195:196], s[44:45]
	v_mul_f64 v[240:241], v[181:182], s[24:25]
	v_fma_f64 v[248:249], v[183:184], s[8:9], -v[242:243]
	v_add_f64 v[203:204], v[246:247], v[203:204]
	v_add_f64 v[205:206], v[205:206], v[222:223]
	v_fma_f64 v[209:210], v[153:154], s[8:9], -v[220:221]
	v_add_f64 v[213:214], v[228:229], v[213:214]
	v_fma_f64 v[220:221], v[163:164], s[26:27], v[224:225]
	v_mul_f64 v[222:223], v[32:33], s[44:45]
	v_add_f64 v[207:208], v[64:65], v[207:208]
	v_fma_f64 v[224:225], v[133:134], s[16:17], -v[226:227]
	v_mul_f64 v[226:227], v[193:194], s[40:41]
	v_fma_f64 v[228:229], v[149:150], s[22:23], v[215:216]
	v_fma_f64 v[244:245], v[179:180], s[16:17], -v[240:241]
	v_add_f64 v[203:204], v[248:249], v[203:204]
	v_add_f64 v[199:200], v[232:233], v[199:200]
	;; [unrolled: 1-line block ×3, first 2 shown]
	v_fma_f64 v[213:214], v[161:162], s[14:15], v[217:218]
	v_mul_f64 v[217:218], v[234:235], s[40:41]
	v_fma_f64 v[230:231], v[165:166], s[22:23], -v[222:223]
	v_add_f64 v[207:208], v[220:221], v[207:208]
	v_mul_f64 v[220:221], v[159:160], s[28:29]
	v_fma_f64 v[232:233], v[145:146], s[8:9], v[226:227]
	v_add_f64 v[228:229], v[66:67], v[228:229]
	v_add_f64 v[203:204], v[244:245], v[203:204]
	v_fma_f64 v[211:212], v[173:174], s[30:31], v[211:212]
	v_mul_f64 v[244:245], v[171:172], s[28:29]
	v_fma_f64 v[246:247], v[163:164], s[8:9], -v[217:218]
	v_add_f64 v[230:231], v[64:65], v[230:231]
	v_add_f64 v[207:208], v[213:214], v[207:208]
	v_mul_f64 v[213:214], v[157:158], s[18:19]
	v_fma_f64 v[248:249], v[147:148], s[26:27], v[220:221]
	v_add_f64 v[228:229], v[232:233], v[228:229]
	v_fma_f64 v[232:233], v[189:190], s[22:23], v[236:237]
	v_mul_f64 v[236:237], v[30:31], s[18:19]
	v_fma_f64 v[250:251], v[161:162], s[26:27], -v[244:245]
	v_add_f64 v[230:231], v[246:247], v[230:231]
	v_add_f64 v[207:208], v[211:212], v[207:208]
	v_mul_f64 v[211:212], v[155:156], s[56:57]
	v_fma_f64 v[246:247], v[143:144], s[14:15], v[213:214]
	;; [unrolled: 8-line block ×3, first 2 shown]
	v_add_f64 v[228:229], v[246:247], v[228:229]
	v_mov_b32_e32 v178, v4
	v_fma_f64 v[242:243], v[183:184], s[8:9], v[242:243]
	v_mov_b32_e32 v177, v3
	v_mov_b32_e32 v176, v2
	;; [unrolled: 1-line block ×3, first 2 shown]
	v_fma_f64 v[0:1], v[189:190], s[16:17], -v[248:249]
	v_add_f64 v[2:3], v[252:253], v[230:231]
	v_add_f64 v[207:208], v[238:239], v[207:208]
	v_mul_f64 v[230:231], v[137:138], s[42:43]
	v_fma_f64 v[238:239], v[139:140], s[30:31], v[232:233]
	v_add_f64 v[228:229], v[250:251], v[228:229]
	v_fma_f64 v[240:241], v[179:180], s[16:17], v[240:241]
	v_mov_b32_e32 v6, v255
	v_fma_f64 v[215:216], v[149:150], s[22:23], -v[215:216]
	v_add_f64 v[0:1], v[0:1], v[2:3]
	v_add_f64 v[2:3], v[242:243], v[207:208]
	v_fma_f64 v[254:255], v[153:154], s[34:35], v[230:231]
	v_fma_f64 v[220:221], v[147:148], s[26:27], -v[220:221]
	v_add_f64 v[228:229], v[238:239], v[228:229]
	v_fma_f64 v[213:214], v[143:144], s[14:15], -v[213:214]
	v_add_f64 v[78:79], v[66:67], v[78:79]
	v_add_f64 v[76:77], v[64:65], v[76:77]
	v_mul_f64 v[246:247], v[191:192], s[52:53]
	v_add_f64 v[207:208], v[240:241], v[2:3]
	v_mov_b32_e32 v240, v7
	v_fma_f64 v[2:3], v[145:146], s[8:9], -v[226:227]
	v_add_f64 v[228:229], v[254:255], v[228:229]
	v_mov_b32_e32 v255, v6
	v_add_f64 v[6:7], v[66:67], v[215:216]
	v_fma_f64 v[211:212], v[141:142], s[16:17], -v[211:212]
	v_add_f64 v[70:71], v[70:71], v[78:79]
	v_add_f64 v[68:69], v[68:69], v[76:77]
	v_mul_f64 v[250:251], v[185:186], s[42:43]
	v_fma_f64 v[252:253], v[187:188], s[30:31], -v[246:247]
	v_mul_f64 v[242:243], v[135:136], s[38:39]
	v_fma_f64 v[226:227], v[153:154], s[34:35], -v[230:231]
	v_add_f64 v[2:3], v[2:3], v[6:7]
	v_fma_f64 v[6:7], v[139:140], s[30:31], -v[232:233]
	v_add_f64 v[70:71], v[86:87], v[70:71]
	v_add_f64 v[68:69], v[84:85], v[68:69]
	v_fma_f64 v[4:5], v[183:184], s[34:35], -v[250:251]
	v_add_f64 v[0:1], v[252:253], v[0:1]
	v_fma_f64 v[222:223], v[165:166], s[22:23], v[222:223]
	v_mul_f64 v[195:196], v[195:196], s[36:37]
	v_add_f64 v[2:3], v[220:221], v[2:3]
	v_fma_f64 v[217:218], v[163:164], s[8:9], v[217:218]
	v_add_f64 v[70:71], v[74:75], v[70:71]
	v_add_f64 v[68:69], v[72:73], v[68:69]
	v_mul_f64 v[193:194], v[193:194], s[44:45]
	v_add_f64 v[0:1], v[4:5], v[0:1]
	v_fma_f64 v[4:5], v[133:134], s[20:21], -v[242:243]
	v_add_f64 v[222:223], v[64:65], v[222:223]
	v_add_f64 v[2:3], v[213:214], v[2:3]
	v_fma_f64 v[230:231], v[149:150], s[20:21], v[195:196]
	v_add_f64 v[70:71], v[90:91], v[70:71]
	v_add_f64 v[88:89], v[88:89], v[68:69]
	v_fma_f64 v[220:221], v[161:162], s[26:27], v[244:245]
	v_mul_f64 v[159:160], v[159:160], s[48:49]
	v_fma_f64 v[213:214], v[173:174], s[14:15], v[236:237]
	v_add_f64 v[217:218], v[217:218], v[222:223]
	v_add_f64 v[2:3], v[211:212], v[2:3]
	v_fma_f64 v[222:223], v[145:146], s[22:23], v[193:194]
	v_add_f64 v[230:231], v[66:67], v[230:231]
	v_mul_f64 v[78:79], v[157:158], s[40:41]
	v_fma_f64 v[211:212], v[189:190], s[16:17], v[248:249]
	v_fma_f64 v[157:158], v[147:148], s[34:35], v[159:160]
	v_mul_f64 v[84:85], v[155:156], s[10:11]
	v_add_f64 v[76:77], v[220:221], v[217:218]
	v_add_f64 v[2:3], v[6:7], v[2:3]
	v_mul_f64 v[74:75], v[151:152], s[28:29]
	v_add_f64 v[217:218], v[222:223], v[230:231]
	v_fma_f64 v[86:87], v[143:144], s[8:9], v[78:79]
	v_fma_f64 v[6:7], v[187:188], s[30:31], v[246:247]
	;; [unrolled: 1-line block ×3, first 2 shown]
	v_fma_f64 v[145:146], v[145:146], s[22:23], -v[193:194]
	v_add_f64 v[76:77], v[213:214], v[76:77]
	v_add_f64 v[2:3], v[226:227], v[2:3]
	v_fma_f64 v[90:91], v[139:140], s[26:27], v[74:75]
	v_add_f64 v[155:156], v[157:158], v[217:218]
	v_mul_f64 v[238:239], v[181:182], s[38:39]
	v_add_f64 v[209:210], v[224:225], v[209:210]
	v_fma_f64 v[224:225], v[133:134], s[20:21], v[242:243]
	v_add_f64 v[72:73], v[211:212], v[76:77]
	v_add_f64 v[68:69], v[4:5], v[2:3]
	v_add_f64 v[2:3], v[82:83], v[70:71]
	v_add_f64 v[4:5], v[80:81], v[88:89]
	v_fma_f64 v[76:77], v[141:142], s[30:31], v[84:85]
	v_add_f64 v[86:87], v[86:87], v[155:156]
	v_mul_f64 v[88:89], v[185:186], s[24:25]
	v_fma_f64 v[215:216], v[179:180], s[20:21], -v[238:239]
	v_add_f64 v[6:7], v[6:7], v[72:73]
	v_mul_f64 v[72:73], v[137:138], s[24:25]
	v_add_f64 v[2:3], v[94:95], v[2:3]
	v_add_f64 v[4:5], v[92:93], v[4:5]
	v_fma_f64 v[137:138], v[149:150], s[20:21], -v[195:196]
	v_add_f64 v[76:77], v[76:77], v[86:87]
	v_mul_f64 v[149:150], v[234:235], s[44:45]
	v_mul_f64 v[94:95], v[34:35], s[10:11]
	v_add_f64 v[70:71], v[151:152], v[6:7]
	v_mul_f64 v[6:7], v[135:136], s[18:19]
	v_add_f64 v[2:3], v[27:28], v[2:3]
	v_add_f64 v[4:5], v[25:26], v[4:5]
	v_mul_f64 v[135:136], v[30:31], s[40:41]
	v_add_f64 v[76:77], v[90:91], v[76:77]
	v_mul_f64 v[90:91], v[32:33], s[36:37]
	v_mul_f64 v[30:31], v[171:172], s[48:49]
	v_add_f64 v[66:67], v[66:67], v[137:138]
	v_fma_f64 v[137:138], v[163:164], s[22:23], v[149:150]
	v_add_f64 v[2:3], v[10:11], v[2:3]
	v_add_f64 v[4:5], v[8:9], v[4:5]
	buffer_load_dword v8, off, s[60:63], 0 offset:56 ; 4-byte Folded Reload
	buffer_load_dword v9, off, s[60:63], 0 offset:60 ; 4-byte Folded Reload
	;; [unrolled: 1-line block ×4, first 2 shown]
	v_fma_f64 v[32:33], v[163:164], s[22:23], -v[149:150]
	v_fma_f64 v[28:29], v[165:166], s[20:21], v[90:91]
	v_fma_f64 v[90:91], v[165:166], s[20:21], -v[90:91]
	v_add_f64 v[66:67], v[145:146], v[66:67]
	v_fma_f64 v[26:27], v[161:162], s[34:35], -v[30:31]
	v_add_f64 v[2:3], v[23:24], v[2:3]
	v_add_f64 v[4:5], v[21:22], v[4:5]
	v_fma_f64 v[22:23], v[173:174], s[8:9], -v[135:136]
	v_mul_f64 v[92:93], v[191:192], s[28:29]
	v_add_f64 v[28:29], v[64:65], v[28:29]
	v_add_f64 v[34:35], v[64:65], v[90:91]
	v_fma_f64 v[64:65], v[147:148], s[34:35], -v[159:160]
	v_fma_f64 v[90:91], v[161:162], s[34:35], v[30:31]
	v_add_f64 v[2:3], v[19:20], v[2:3]
	v_add_f64 v[4:5], v[17:18], v[4:5]
	v_fma_f64 v[30:31], v[143:144], s[8:9], -v[78:79]
	v_fma_f64 v[18:19], v[189:190], s[30:31], -v[94:95]
	v_add_f64 v[24:25], v[137:138], v[28:29]
	v_add_f64 v[28:29], v[32:33], v[34:35]
	;; [unrolled: 1-line block ×3, first 2 shown]
	v_fma_f64 v[34:35], v[173:174], s[8:9], v[135:136]
	v_add_f64 v[2:3], v[15:16], v[2:3]
	v_add_f64 v[4:5], v[13:14], v[4:5]
	v_fma_f64 v[14:15], v[187:188], s[26:27], -v[92:93]
	v_mul_f64 v[82:83], v[181:182], s[18:19]
	v_add_f64 v[20:21], v[90:91], v[24:25]
	v_add_f64 v[24:25], v[26:27], v[28:29]
	v_fma_f64 v[26:27], v[141:142], s[30:31], -v[84:85]
	v_add_f64 v[28:29], v[30:31], v[32:33]
	v_fma_f64 v[30:31], v[189:190], s[30:31], v[94:95]
	v_fma_f64 v[80:81], v[153:154], s[16:17], v[72:73]
	;; [unrolled: 1-line block ×3, first 2 shown]
	v_add_f64 v[16:17], v[34:35], v[20:21]
	v_add_f64 v[20:21], v[22:23], v[24:25]
	v_fma_f64 v[22:23], v[139:140], s[26:27], -v[74:75]
	v_add_f64 v[24:25], v[26:27], v[28:29]
	v_fma_f64 v[26:27], v[187:188], s[26:27], v[92:93]
	v_fma_f64 v[28:29], v[179:180], s[14:15], -v[82:83]
	v_add_f64 v[66:67], v[86:87], v[70:71]
	v_add_f64 v[12:13], v[30:31], v[16:17]
	;; [unrolled: 1-line block ×3, first 2 shown]
	v_fma_f64 v[18:19], v[153:154], s[16:17], -v[72:73]
	v_add_f64 v[20:21], v[22:23], v[24:25]
	v_fma_f64 v[22:23], v[183:184], s[16:17], v[88:89]
	v_fma_f64 v[24:25], v[133:134], s[14:15], v[6:7]
	s_waitcnt vmcnt(0)
	v_add_f64 v[2:3], v[10:11], v[2:3]
	v_add_f64 v[4:5], v[8:9], v[4:5]
	buffer_load_dword v8, off, s[60:63], 0 offset:40 ; 4-byte Folded Reload
	buffer_load_dword v9, off, s[60:63], 0 offset:44 ; 4-byte Folded Reload
	;; [unrolled: 1-line block ×4, first 2 shown]
	s_waitcnt vmcnt(0)
	v_add_f64 v[2:3], v[10:11], v[2:3]
	v_add_f64 v[4:5], v[8:9], v[4:5]
	;; [unrolled: 1-line block ×3, first 2 shown]
	v_fma_f64 v[10:11], v[183:184], s[16:17], -v[88:89]
	v_add_f64 v[12:13], v[14:15], v[16:17]
	v_add_f64 v[16:17], v[18:19], v[20:21]
	v_fma_f64 v[14:15], v[133:134], s[14:15], -v[6:7]
	v_fma_f64 v[18:19], v[179:180], s[14:15], v[82:83]
	v_add_f64 v[2:3], v[177:178], v[2:3]
	v_add_f64 v[20:21], v[175:176], v[4:5]
	;; [unrolled: 1-line block ×6, first 2 shown]
	buffer_load_dword v0, off, s[60:63], 0 offset:4 ; 4-byte Folded Reload
	v_add_f64 v[4:5], v[14:15], v[16:17]
	v_add_f64 v[8:9], v[169:170], v[2:3]
	;; [unrolled: 1-line block ×7, first 2 shown]
	s_waitcnt vmcnt(0)
	v_lshl_add_u32 v0, v219, 4, v0
	ds_write_b128 v0, v[6:9]
	ds_write_b128 v0, v[2:5] offset:16
	ds_write_b128 v0, v[66:69] offset:32
	;; [unrolled: 1-line block ×16, first 2 shown]
.LBB0_13:
	s_or_b64 exec, exec, s[4:5]
	s_waitcnt lgkmcnt(0)
	s_barrier
	ds_read_b128 v[0:3], v198
	ds_read_b128 v[4:7], v198 offset:272
	ds_read_b128 v[8:11], v198 offset:544
	;; [unrolled: 1-line block ×5, first 2 shown]
	s_waitcnt lgkmcnt(4)
	v_mul_f64 v[32:33], v[50:51], v[6:7]
	v_mul_f64 v[34:35], v[50:51], v[4:5]
	s_waitcnt lgkmcnt(3)
	v_mul_f64 v[50:51], v[46:47], v[10:11]
	v_mul_f64 v[46:47], v[46:47], v[8:9]
	;; [unrolled: 3-line block ×3, first 2 shown]
	ds_read_b128 v[24:27], v198 offset:1632
	ds_read_b128 v[28:31], v198 offset:1904
	s_mov_b32 s4, 0x667f3bcd
	v_fma_f64 v[4:5], v[48:49], v[4:5], v[32:33]
	v_fma_f64 v[6:7], v[48:49], v[6:7], -v[34:35]
	v_fma_f64 v[8:9], v[44:45], v[8:9], v[50:51]
	v_fma_f64 v[10:11], v[44:45], v[10:11], -v[46:47]
	;; [unrolled: 2-line block ×3, first 2 shown]
	s_waitcnt lgkmcnt(3)
	v_mul_f64 v[32:33], v[38:39], v[18:19]
	v_mul_f64 v[34:35], v[38:39], v[16:17]
	s_waitcnt lgkmcnt(1)
	v_mul_f64 v[38:39], v[62:63], v[26:27]
	v_mul_f64 v[40:41], v[62:63], v[24:25]
	;; [unrolled: 1-line block ×4, first 2 shown]
	s_waitcnt lgkmcnt(0)
	v_mul_f64 v[46:47], v[54:55], v[30:31]
	v_mul_f64 v[48:49], v[54:55], v[28:29]
	v_fma_f64 v[16:17], v[36:37], v[16:17], v[32:33]
	v_fma_f64 v[18:19], v[36:37], v[18:19], -v[34:35]
	v_fma_f64 v[24:25], v[60:61], v[24:25], v[38:39]
	v_fma_f64 v[26:27], v[60:61], v[26:27], -v[40:41]
	;; [unrolled: 2-line block ×4, first 2 shown]
	v_add_f64 v[16:17], v[0:1], -v[16:17]
	v_add_f64 v[18:19], v[2:3], -v[18:19]
	;; [unrolled: 1-line block ×8, first 2 shown]
	v_fma_f64 v[0:1], v[0:1], 2.0, -v[16:17]
	v_fma_f64 v[2:3], v[2:3], 2.0, -v[18:19]
	;; [unrolled: 1-line block ×8, first 2 shown]
	v_add_f64 v[32:33], v[16:17], v[26:27]
	v_add_f64 v[34:35], v[18:19], -v[24:25]
	v_add_f64 v[24:25], v[20:21], v[30:31]
	v_add_f64 v[26:27], v[22:23], -v[28:29]
	v_add_f64 v[28:29], v[0:1], -v[8:9]
	;; [unrolled: 1-line block ×5, first 2 shown]
	v_fma_f64 v[36:37], v[16:17], 2.0, -v[32:33]
	v_fma_f64 v[38:39], v[18:19], 2.0, -v[34:35]
	;; [unrolled: 1-line block ×8, first 2 shown]
	s_mov_b32 s5, 0xbfe6a09e
	s_mov_b32 s9, 0x3fe6a09e
	v_fma_f64 v[4:5], v[12:13], s[4:5], v[36:37]
	v_fma_f64 v[6:7], v[14:15], s[4:5], v[38:39]
	s_mov_b32 s8, s4
	v_fma_f64 v[20:21], v[24:25], s[8:9], v[32:33]
	v_fma_f64 v[22:23], v[26:27], s[8:9], v[34:35]
	v_add_f64 v[0:1], v[16:17], -v[0:1]
	v_add_f64 v[2:3], v[18:19], -v[2:3]
	v_add_f64 v[8:9], v[28:29], v[8:9]
	v_fma_f64 v[4:5], v[14:15], s[8:9], v[4:5]
	v_fma_f64 v[6:7], v[12:13], s[4:5], v[6:7]
	v_add_f64 v[10:11], v[30:31], -v[10:11]
	v_fma_f64 v[12:13], v[26:27], s[8:9], v[20:21]
	v_fma_f64 v[14:15], v[24:25], s[4:5], v[22:23]
	v_fma_f64 v[16:17], v[16:17], 2.0, -v[0:1]
	v_fma_f64 v[18:19], v[18:19], 2.0, -v[2:3]
	;; [unrolled: 1-line block ×8, first 2 shown]
	ds_write_b128 v197, v[16:19]
	ds_write_b128 v197, v[20:23] offset:272
	ds_write_b128 v197, v[24:27] offset:544
	;; [unrolled: 1-line block ×7, first 2 shown]
	s_waitcnt lgkmcnt(0)
	s_barrier
	s_and_b64 exec, exec, vcc
	s_cbranch_execz .LBB0_15
; %bb.14:
	buffer_load_dword v4, off, s[60:63], 0  ; 4-byte Folded Reload
	global_load_dwordx4 v[0:3], v240, s[6:7]
	v_mad_u64_u32 v[8:9], s[4:5], s2, v132, 0
	v_mad_u64_u32 v[10:11], s[4:5], s0, v255, 0
	;; [unrolled: 1-line block ×3, first 2 shown]
	v_mov_b32_e32 v9, v14
	s_waitcnt vmcnt(1)
	ds_read_b128 v[4:7], v4
	s_waitcnt vmcnt(0) lgkmcnt(0)
	v_mul_f64 v[12:13], v[6:7], v[2:3]
	v_mul_f64 v[2:3], v[4:5], v[2:3]
	v_fma_f64 v[4:5], v[4:5], v[0:1], v[12:13]
	v_fma_f64 v[0:1], v[0:1], v[6:7], -v[2:3]
	v_mad_u64_u32 v[15:16], s[2:3], s1, v255, v[11:12]
	s_mov_b32 s2, 0x1e1e1e1e
	s_mov_b32 s3, 0x3f7e1e1e
	v_lshlrev_b64 v[6:7], 4, v[8:9]
	v_mov_b32_e32 v11, v15
	v_mul_f64 v[2:3], v[4:5], s[2:3]
	v_mul_f64 v[4:5], v[0:1], s[2:3]
	v_mov_b32_e32 v12, s13
	v_lshlrev_b64 v[8:9], 4, v[10:11]
	v_add_co_u32_e32 v0, vcc, s12, v6
	v_addc_co_u32_e32 v1, vcc, v12, v7, vcc
	v_add_co_u32_e32 v6, vcc, v0, v8
	v_addc_co_u32_e32 v7, vcc, v1, v9, vcc
	global_store_dwordx4 v[6:7], v[2:5], off
	global_load_dwordx4 v[2:5], v240, s[6:7] offset:128
	ds_read_b128 v[6:9], v197 offset:128
	ds_read_b128 v[10:13], v197 offset:256
	buffer_load_dword v18, off, s[60:63], 0 offset:36 ; 4-byte Folded Reload
	s_waitcnt vmcnt(1) lgkmcnt(1)
	v_mul_f64 v[14:15], v[8:9], v[4:5]
	v_mul_f64 v[4:5], v[6:7], v[4:5]
	v_fma_f64 v[6:7], v[6:7], v[2:3], v[14:15]
	buffer_load_dword v14, off, s[60:63], 0 offset:32 ; 4-byte Folded Reload
	v_fma_f64 v[4:5], v[2:3], v[8:9], -v[4:5]
	s_waitcnt vmcnt(1)
	v_mad_u64_u32 v[16:17], s[4:5], s0, v18, 0
	v_mov_b32_e32 v2, v17
	v_mad_u64_u32 v[8:9], s[4:5], s1, v18, v[2:3]
	v_mul_f64 v[2:3], v[6:7], s[2:3]
	v_mul_f64 v[4:5], v[4:5], s[2:3]
	v_mov_b32_e32 v17, v8
	v_lshlrev_b64 v[6:7], 4, v[16:17]
	v_add_co_u32_e32 v6, vcc, v0, v6
	v_addc_co_u32_e32 v7, vcc, v1, v7, vcc
	global_store_dwordx4 v[6:7], v[2:5], off
	global_load_dwordx4 v[2:5], v240, s[6:7] offset:256
	s_waitcnt vmcnt(2)
	v_mad_u64_u32 v[8:9], s[4:5], s0, v14, 0
	s_waitcnt vmcnt(0) lgkmcnt(0)
	v_mul_f64 v[6:7], v[12:13], v[4:5]
	v_mul_f64 v[4:5], v[10:11], v[4:5]
	v_fma_f64 v[6:7], v[10:11], v[2:3], v[6:7]
	v_fma_f64 v[4:5], v[2:3], v[12:13], -v[4:5]
	v_mov_b32_e32 v2, v9
	v_mad_u64_u32 v[9:10], s[4:5], s1, v14, v[2:3]
	v_mul_f64 v[2:3], v[6:7], s[2:3]
	v_mul_f64 v[4:5], v[4:5], s[2:3]
	v_lshlrev_b64 v[6:7], 4, v[8:9]
	v_add_co_u32_e32 v6, vcc, v0, v6
	v_addc_co_u32_e32 v7, vcc, v1, v7, vcc
	global_store_dwordx4 v[6:7], v[2:5], off
	global_load_dwordx4 v[2:5], v240, s[6:7] offset:384
	ds_read_b128 v[6:9], v197 offset:384
	ds_read_b128 v[10:13], v197 offset:512
	buffer_load_dword v18, off, s[60:63], 0 offset:28 ; 4-byte Folded Reload
	s_waitcnt vmcnt(1) lgkmcnt(1)
	v_mul_f64 v[14:15], v[8:9], v[4:5]
	v_mul_f64 v[4:5], v[6:7], v[4:5]
	v_fma_f64 v[6:7], v[6:7], v[2:3], v[14:15]
	buffer_load_dword v14, off, s[60:63], 0 offset:24 ; 4-byte Folded Reload
	v_fma_f64 v[4:5], v[2:3], v[8:9], -v[4:5]
	s_waitcnt vmcnt(1)
	v_mad_u64_u32 v[16:17], s[4:5], s0, v18, 0
	v_mov_b32_e32 v2, v17
	v_mad_u64_u32 v[8:9], s[4:5], s1, v18, v[2:3]
	v_mul_f64 v[2:3], v[6:7], s[2:3]
	v_mul_f64 v[4:5], v[4:5], s[2:3]
	v_mov_b32_e32 v17, v8
	v_lshlrev_b64 v[6:7], 4, v[16:17]
	v_add_co_u32_e32 v6, vcc, v0, v6
	v_addc_co_u32_e32 v7, vcc, v1, v7, vcc
	global_store_dwordx4 v[6:7], v[2:5], off
	global_load_dwordx4 v[2:5], v240, s[6:7] offset:512
	s_waitcnt vmcnt(2)
	v_mad_u64_u32 v[8:9], s[4:5], s0, v14, 0
	s_waitcnt vmcnt(0) lgkmcnt(0)
	v_mul_f64 v[6:7], v[12:13], v[4:5]
	v_mul_f64 v[4:5], v[10:11], v[4:5]
	v_fma_f64 v[6:7], v[10:11], v[2:3], v[6:7]
	v_fma_f64 v[4:5], v[2:3], v[12:13], -v[4:5]
	v_mov_b32_e32 v2, v9
	v_mad_u64_u32 v[9:10], s[4:5], s1, v14, v[2:3]
	v_mul_f64 v[2:3], v[6:7], s[2:3]
	v_mul_f64 v[4:5], v[4:5], s[2:3]
	v_lshlrev_b64 v[6:7], 4, v[8:9]
	;; [unrolled: 37-line block ×3, first 2 shown]
	v_add_co_u32_e32 v6, vcc, v0, v6
	v_addc_co_u32_e32 v7, vcc, v1, v7, vcc
	global_store_dwordx4 v[6:7], v[2:5], off
	global_load_dwordx4 v[2:5], v240, s[6:7] offset:896
	ds_read_b128 v[6:9], v197 offset:896
	ds_read_b128 v[10:13], v197 offset:1024
	buffer_load_dword v18, off, s[60:63], 0 offset:12 ; 4-byte Folded Reload
	s_waitcnt vmcnt(1) lgkmcnt(1)
	v_mul_f64 v[14:15], v[8:9], v[4:5]
	v_mul_f64 v[4:5], v[6:7], v[4:5]
	v_fma_f64 v[6:7], v[6:7], v[2:3], v[14:15]
	buffer_load_dword v14, off, s[60:63], 0 offset:8 ; 4-byte Folded Reload
	v_fma_f64 v[4:5], v[2:3], v[8:9], -v[4:5]
	s_waitcnt vmcnt(1)
	v_mad_u64_u32 v[16:17], s[4:5], s0, v18, 0
	v_mov_b32_e32 v2, v17
	v_mad_u64_u32 v[8:9], s[4:5], s1, v18, v[2:3]
	v_mul_f64 v[2:3], v[6:7], s[2:3]
	v_mul_f64 v[4:5], v[4:5], s[2:3]
	v_mov_b32_e32 v17, v8
	v_lshlrev_b64 v[6:7], 4, v[16:17]
	v_or_b32_e32 v18, 0x48, v255
	v_add_co_u32_e32 v6, vcc, v0, v6
	v_addc_co_u32_e32 v7, vcc, v1, v7, vcc
	global_store_dwordx4 v[6:7], v[2:5], off
	global_load_dwordx4 v[2:5], v240, s[6:7] offset:1024
	v_mad_u64_u32 v[16:17], s[4:5], s0, v18, 0
	s_waitcnt vmcnt(2)
	v_mad_u64_u32 v[8:9], s[4:5], s0, v14, 0
	s_waitcnt vmcnt(0) lgkmcnt(0)
	v_mul_f64 v[6:7], v[12:13], v[4:5]
	v_mul_f64 v[4:5], v[10:11], v[4:5]
	v_fma_f64 v[6:7], v[10:11], v[2:3], v[6:7]
	v_fma_f64 v[4:5], v[2:3], v[12:13], -v[4:5]
	v_mov_b32_e32 v2, v9
	v_mad_u64_u32 v[9:10], s[4:5], s1, v14, v[2:3]
	v_mul_f64 v[2:3], v[6:7], s[2:3]
	v_mul_f64 v[4:5], v[4:5], s[2:3]
	v_lshlrev_b64 v[6:7], 4, v[8:9]
	v_add_co_u32_e32 v6, vcc, v0, v6
	v_addc_co_u32_e32 v7, vcc, v1, v7, vcc
	global_store_dwordx4 v[6:7], v[2:5], off
	global_load_dwordx4 v[2:5], v240, s[6:7] offset:1152
	ds_read_b128 v[6:9], v197 offset:1152
	ds_read_b128 v[10:13], v197 offset:1280
	s_waitcnt vmcnt(0) lgkmcnt(1)
	v_mul_f64 v[14:15], v[8:9], v[4:5]
	v_mul_f64 v[4:5], v[6:7], v[4:5]
	v_fma_f64 v[6:7], v[6:7], v[2:3], v[14:15]
	v_fma_f64 v[4:5], v[2:3], v[8:9], -v[4:5]
	v_mov_b32_e32 v2, v17
	v_mad_u64_u32 v[8:9], s[4:5], s1, v18, v[2:3]
	v_or_b32_e32 v14, 0x50, v255
	v_or_b32_e32 v18, 0x58, v255
	v_mov_b32_e32 v17, v8
	v_mul_f64 v[2:3], v[6:7], s[2:3]
	v_mul_f64 v[4:5], v[4:5], s[2:3]
	v_lshlrev_b64 v[6:7], 4, v[16:17]
	v_mad_u64_u32 v[8:9], s[4:5], s0, v14, 0
	v_add_co_u32_e32 v6, vcc, v0, v6
	v_addc_co_u32_e32 v7, vcc, v1, v7, vcc
	global_store_dwordx4 v[6:7], v[2:5], off
	global_load_dwordx4 v[2:5], v240, s[6:7] offset:1280
	v_mad_u64_u32 v[16:17], s[4:5], s0, v18, 0
	s_waitcnt vmcnt(0) lgkmcnt(0)
	v_mul_f64 v[6:7], v[12:13], v[4:5]
	v_mul_f64 v[4:5], v[10:11], v[4:5]
	v_fma_f64 v[6:7], v[10:11], v[2:3], v[6:7]
	v_fma_f64 v[4:5], v[2:3], v[12:13], -v[4:5]
	v_mov_b32_e32 v2, v9
	v_mad_u64_u32 v[9:10], s[4:5], s1, v14, v[2:3]
	v_mul_f64 v[2:3], v[6:7], s[2:3]
	v_mul_f64 v[4:5], v[4:5], s[2:3]
	v_lshlrev_b64 v[6:7], 4, v[8:9]
	v_add_co_u32_e32 v6, vcc, v0, v6
	v_addc_co_u32_e32 v7, vcc, v1, v7, vcc
	global_store_dwordx4 v[6:7], v[2:5], off
	global_load_dwordx4 v[2:5], v240, s[6:7] offset:1408
	ds_read_b128 v[6:9], v197 offset:1408
	ds_read_b128 v[10:13], v197 offset:1536
	s_waitcnt vmcnt(0) lgkmcnt(1)
	v_mul_f64 v[14:15], v[8:9], v[4:5]
	v_mul_f64 v[4:5], v[6:7], v[4:5]
	v_fma_f64 v[6:7], v[6:7], v[2:3], v[14:15]
	v_fma_f64 v[4:5], v[2:3], v[8:9], -v[4:5]
	v_mov_b32_e32 v2, v17
	v_mad_u64_u32 v[8:9], s[4:5], s1, v18, v[2:3]
	v_or_b32_e32 v14, 0x60, v255
	v_or_b32_e32 v18, 0x68, v255
	v_mov_b32_e32 v17, v8
	v_mul_f64 v[2:3], v[6:7], s[2:3]
	v_mul_f64 v[4:5], v[4:5], s[2:3]
	v_lshlrev_b64 v[6:7], 4, v[16:17]
	v_mad_u64_u32 v[8:9], s[4:5], s0, v14, 0
	v_add_co_u32_e32 v6, vcc, v0, v6
	v_addc_co_u32_e32 v7, vcc, v1, v7, vcc
	global_store_dwordx4 v[6:7], v[2:5], off
	global_load_dwordx4 v[2:5], v240, s[6:7] offset:1536
	v_mad_u64_u32 v[16:17], s[4:5], s0, v18, 0
	s_waitcnt vmcnt(0) lgkmcnt(0)
	v_mul_f64 v[6:7], v[12:13], v[4:5]
	v_mul_f64 v[4:5], v[10:11], v[4:5]
	v_fma_f64 v[6:7], v[10:11], v[2:3], v[6:7]
	v_fma_f64 v[4:5], v[2:3], v[12:13], -v[4:5]
	v_mov_b32_e32 v2, v9
	v_mad_u64_u32 v[9:10], s[4:5], s1, v14, v[2:3]
	v_mul_f64 v[2:3], v[6:7], s[2:3]
	v_mul_f64 v[4:5], v[4:5], s[2:3]
	v_lshlrev_b64 v[6:7], 4, v[8:9]
	v_add_co_u32_e32 v6, vcc, v0, v6
	v_addc_co_u32_e32 v7, vcc, v1, v7, vcc
	global_store_dwordx4 v[6:7], v[2:5], off
	global_load_dwordx4 v[2:5], v240, s[6:7] offset:1664
	ds_read_b128 v[6:9], v197 offset:1664
	ds_read_b128 v[10:13], v197 offset:1792
	s_waitcnt vmcnt(0) lgkmcnt(1)
	v_mul_f64 v[14:15], v[8:9], v[4:5]
	v_mul_f64 v[4:5], v[6:7], v[4:5]
	v_fma_f64 v[6:7], v[6:7], v[2:3], v[14:15]
	v_fma_f64 v[4:5], v[2:3], v[8:9], -v[4:5]
	v_mov_b32_e32 v2, v17
	v_mad_u64_u32 v[8:9], s[4:5], s1, v18, v[2:3]
	v_or_b32_e32 v14, 0x70, v255
	v_or_b32_e32 v18, 0x78, v255
	v_mov_b32_e32 v17, v8
	v_mul_f64 v[2:3], v[6:7], s[2:3]
	v_mul_f64 v[4:5], v[4:5], s[2:3]
	v_lshlrev_b64 v[6:7], 4, v[16:17]
	v_mad_u64_u32 v[8:9], s[4:5], s0, v14, 0
	v_add_co_u32_e32 v6, vcc, v0, v6
	v_addc_co_u32_e32 v7, vcc, v1, v7, vcc
	global_store_dwordx4 v[6:7], v[2:5], off
	global_load_dwordx4 v[2:5], v240, s[6:7] offset:1792
	v_mad_u64_u32 v[16:17], s[4:5], s0, v18, 0
	s_waitcnt vmcnt(0) lgkmcnt(0)
	v_mul_f64 v[6:7], v[12:13], v[4:5]
	v_mul_f64 v[4:5], v[10:11], v[4:5]
	v_fma_f64 v[6:7], v[10:11], v[2:3], v[6:7]
	v_fma_f64 v[4:5], v[2:3], v[12:13], -v[4:5]
	v_mov_b32_e32 v2, v9
	v_mad_u64_u32 v[9:10], s[4:5], s1, v14, v[2:3]
	v_mul_f64 v[2:3], v[6:7], s[2:3]
	v_mul_f64 v[4:5], v[4:5], s[2:3]
	v_lshlrev_b64 v[6:7], 4, v[8:9]
	v_add_co_u32_e32 v6, vcc, v0, v6
	v_addc_co_u32_e32 v7, vcc, v1, v7, vcc
	global_store_dwordx4 v[6:7], v[2:5], off
	global_load_dwordx4 v[2:5], v240, s[6:7] offset:1920
	ds_read_b128 v[6:9], v197 offset:1920
	ds_read_b128 v[10:13], v197 offset:2048
	s_waitcnt vmcnt(0) lgkmcnt(1)
	v_mul_f64 v[14:15], v[8:9], v[4:5]
	v_mul_f64 v[4:5], v[6:7], v[4:5]
	v_fma_f64 v[6:7], v[6:7], v[2:3], v[14:15]
	v_fma_f64 v[4:5], v[2:3], v[8:9], -v[4:5]
	v_mov_b32_e32 v2, v17
	v_mad_u64_u32 v[8:9], s[4:5], s1, v18, v[2:3]
	v_or_b32_e32 v14, 0x80, v255
	v_mov_b32_e32 v17, v8
	v_mul_f64 v[2:3], v[6:7], s[2:3]
	v_mul_f64 v[4:5], v[4:5], s[2:3]
	v_lshlrev_b64 v[6:7], 4, v[16:17]
	v_mad_u64_u32 v[8:9], s[4:5], s0, v14, 0
	v_add_co_u32_e32 v6, vcc, v0, v6
	v_addc_co_u32_e32 v7, vcc, v1, v7, vcc
	global_store_dwordx4 v[6:7], v[2:5], off
	global_load_dwordx4 v[2:5], v240, s[6:7] offset:2048
	s_waitcnt vmcnt(0) lgkmcnt(0)
	v_mul_f64 v[6:7], v[12:13], v[4:5]
	v_mul_f64 v[4:5], v[10:11], v[4:5]
	v_fma_f64 v[6:7], v[10:11], v[2:3], v[6:7]
	v_fma_f64 v[4:5], v[2:3], v[12:13], -v[4:5]
	v_mov_b32_e32 v2, v9
	v_mad_u64_u32 v[9:10], s[0:1], s1, v14, v[2:3]
	v_mul_f64 v[2:3], v[6:7], s[2:3]
	v_mul_f64 v[4:5], v[4:5], s[2:3]
	v_lshlrev_b64 v[6:7], 4, v[8:9]
	v_add_co_u32_e32 v0, vcc, v0, v6
	v_addc_co_u32_e32 v1, vcc, v1, v7, vcc
	global_store_dwordx4 v[0:1], v[2:5], off
.LBB0_15:
	s_endpgm
	.section	.rodata,"a",@progbits
	.p2align	6, 0x0
	.amdhsa_kernel bluestein_single_back_len136_dim1_dp_op_CI_CI
		.amdhsa_group_segment_fixed_size 15232
		.amdhsa_private_segment_fixed_size 532
		.amdhsa_kernarg_size 104
		.amdhsa_user_sgpr_count 6
		.amdhsa_user_sgpr_private_segment_buffer 1
		.amdhsa_user_sgpr_dispatch_ptr 0
		.amdhsa_user_sgpr_queue_ptr 0
		.amdhsa_user_sgpr_kernarg_segment_ptr 1
		.amdhsa_user_sgpr_dispatch_id 0
		.amdhsa_user_sgpr_flat_scratch_init 0
		.amdhsa_user_sgpr_private_segment_size 0
		.amdhsa_uses_dynamic_stack 0
		.amdhsa_system_sgpr_private_segment_wavefront_offset 1
		.amdhsa_system_sgpr_workgroup_id_x 1
		.amdhsa_system_sgpr_workgroup_id_y 0
		.amdhsa_system_sgpr_workgroup_id_z 0
		.amdhsa_system_sgpr_workgroup_info 0
		.amdhsa_system_vgpr_workitem_id 0
		.amdhsa_next_free_vgpr 256
		.amdhsa_next_free_sgpr 64
		.amdhsa_reserve_vcc 1
		.amdhsa_reserve_flat_scratch 0
		.amdhsa_float_round_mode_32 0
		.amdhsa_float_round_mode_16_64 0
		.amdhsa_float_denorm_mode_32 3
		.amdhsa_float_denorm_mode_16_64 3
		.amdhsa_dx10_clamp 1
		.amdhsa_ieee_mode 1
		.amdhsa_fp16_overflow 0
		.amdhsa_exception_fp_ieee_invalid_op 0
		.amdhsa_exception_fp_denorm_src 0
		.amdhsa_exception_fp_ieee_div_zero 0
		.amdhsa_exception_fp_ieee_overflow 0
		.amdhsa_exception_fp_ieee_underflow 0
		.amdhsa_exception_fp_ieee_inexact 0
		.amdhsa_exception_int_div_zero 0
	.end_amdhsa_kernel
	.text
.Lfunc_end0:
	.size	bluestein_single_back_len136_dim1_dp_op_CI_CI, .Lfunc_end0-bluestein_single_back_len136_dim1_dp_op_CI_CI
                                        ; -- End function
	.section	.AMDGPU.csdata,"",@progbits
; Kernel info:
; codeLenInByte = 23384
; NumSgprs: 68
; NumVgprs: 256
; ScratchSize: 532
; MemoryBound: 0
; FloatMode: 240
; IeeeMode: 1
; LDSByteSize: 15232 bytes/workgroup (compile time only)
; SGPRBlocks: 8
; VGPRBlocks: 63
; NumSGPRsForWavesPerEU: 68
; NumVGPRsForWavesPerEU: 256
; Occupancy: 1
; WaveLimiterHint : 1
; COMPUTE_PGM_RSRC2:SCRATCH_EN: 1
; COMPUTE_PGM_RSRC2:USER_SGPR: 6
; COMPUTE_PGM_RSRC2:TRAP_HANDLER: 0
; COMPUTE_PGM_RSRC2:TGID_X_EN: 1
; COMPUTE_PGM_RSRC2:TGID_Y_EN: 0
; COMPUTE_PGM_RSRC2:TGID_Z_EN: 0
; COMPUTE_PGM_RSRC2:TIDIG_COMP_CNT: 0
	.type	__hip_cuid_c75383075e7c8a04,@object ; @__hip_cuid_c75383075e7c8a04
	.section	.bss,"aw",@nobits
	.globl	__hip_cuid_c75383075e7c8a04
__hip_cuid_c75383075e7c8a04:
	.byte	0                               ; 0x0
	.size	__hip_cuid_c75383075e7c8a04, 1

	.ident	"AMD clang version 19.0.0git (https://github.com/RadeonOpenCompute/llvm-project roc-6.4.0 25133 c7fe45cf4b819c5991fe208aaa96edf142730f1d)"
	.section	".note.GNU-stack","",@progbits
	.addrsig
	.addrsig_sym __hip_cuid_c75383075e7c8a04
	.amdgpu_metadata
---
amdhsa.kernels:
  - .args:
      - .actual_access:  read_only
        .address_space:  global
        .offset:         0
        .size:           8
        .value_kind:     global_buffer
      - .actual_access:  read_only
        .address_space:  global
        .offset:         8
        .size:           8
        .value_kind:     global_buffer
      - .actual_access:  read_only
        .address_space:  global
        .offset:         16
        .size:           8
        .value_kind:     global_buffer
      - .actual_access:  read_only
        .address_space:  global
        .offset:         24
        .size:           8
        .value_kind:     global_buffer
      - .actual_access:  read_only
        .address_space:  global
        .offset:         32
        .size:           8
        .value_kind:     global_buffer
      - .offset:         40
        .size:           8
        .value_kind:     by_value
      - .address_space:  global
        .offset:         48
        .size:           8
        .value_kind:     global_buffer
      - .address_space:  global
        .offset:         56
        .size:           8
        .value_kind:     global_buffer
      - .address_space:  global
        .offset:         64
        .size:           8
        .value_kind:     global_buffer
      - .address_space:  global
        .offset:         72
        .size:           8
        .value_kind:     global_buffer
      - .offset:         80
        .size:           4
        .value_kind:     by_value
      - .address_space:  global
        .offset:         88
        .size:           8
        .value_kind:     global_buffer
      - .address_space:  global
        .offset:         96
        .size:           8
        .value_kind:     global_buffer
    .group_segment_fixed_size: 15232
    .kernarg_segment_align: 8
    .kernarg_segment_size: 104
    .language:       OpenCL C
    .language_version:
      - 2
      - 0
    .max_flat_workgroup_size: 119
    .name:           bluestein_single_back_len136_dim1_dp_op_CI_CI
    .private_segment_fixed_size: 532
    .sgpr_count:     68
    .sgpr_spill_count: 0
    .symbol:         bluestein_single_back_len136_dim1_dp_op_CI_CI.kd
    .uniform_work_group_size: 1
    .uses_dynamic_stack: false
    .vgpr_count:     256
    .vgpr_spill_count: 136
    .wavefront_size: 64
amdhsa.target:   amdgcn-amd-amdhsa--gfx906
amdhsa.version:
  - 1
  - 2
...

	.end_amdgpu_metadata
